;; amdgpu-corpus repo=ROCm/rocFFT kind=compiled arch=gfx1100 opt=O3
	.text
	.amdgcn_target "amdgcn-amd-amdhsa--gfx1100"
	.amdhsa_code_object_version 6
	.protected	bluestein_single_back_len1309_dim1_dp_op_CI_CI ; -- Begin function bluestein_single_back_len1309_dim1_dp_op_CI_CI
	.globl	bluestein_single_back_len1309_dim1_dp_op_CI_CI
	.p2align	8
	.type	bluestein_single_back_len1309_dim1_dp_op_CI_CI,@function
bluestein_single_back_len1309_dim1_dp_op_CI_CI: ; @bluestein_single_back_len1309_dim1_dp_op_CI_CI
; %bb.0:
	s_load_b128 s[4:7], s[0:1], 0x28
	v_mul_u32_u24_e32 v1, 0x227, v0
	s_mov_b32 s2, exec_lo
	v_mov_b32_e32 v4, 0
	s_delay_alu instid0(VALU_DEP_2) | instskip(NEXT) | instid1(VALU_DEP_1)
	v_lshrrev_b32_e32 v1, 16, v1
	v_add_nc_u32_e32 v3, s15, v1
	s_delay_alu instid0(VALU_DEP_1)
	v_mov_b32_e32 v2, v3
	scratch_store_b64 off, v[2:3], off      ; 8-byte Folded Spill
	s_waitcnt lgkmcnt(0)
	v_cmpx_gt_u64_e64 s[4:5], v[3:4]
	s_cbranch_execz .LBB0_23
; %bb.1:
	s_clause 0x1
	s_load_b64 s[12:13], s[0:1], 0x0
	s_load_b64 s[14:15], s[0:1], 0x38
	v_mul_lo_u16 v1, 0x77, v1
	s_delay_alu instid0(VALU_DEP_1) | instskip(NEXT) | instid1(VALU_DEP_1)
	v_sub_nc_u16 v0, v0, v1
	v_and_b32_e32 v1, 0xffff, v0
	v_cmp_gt_u16_e32 vcc_lo, 0x4d, v0
	s_delay_alu instid0(VALU_DEP_2)
	v_lshlrev_b32_e32 v255, 4, v1
	scratch_store_b32 off, v1, off offset:8 ; 4-byte Folded Spill
	s_and_saveexec_b32 s3, vcc_lo
	s_cbranch_execz .LBB0_3
; %bb.2:
	s_load_b64 s[4:5], s[0:1], 0x18
	s_waitcnt lgkmcnt(0)
	v_add_co_u32 v18, s2, s12, v255
	s_delay_alu instid0(VALU_DEP_1) | instskip(NEXT) | instid1(VALU_DEP_2)
	v_add_co_ci_u32_e64 v19, null, s13, 0, s2
	v_add_co_u32 v24, s2, 0x1000, v18
	s_delay_alu instid0(VALU_DEP_1) | instskip(SKIP_1) | instid1(VALU_DEP_1)
	v_add_co_ci_u32_e64 v25, s2, 0, v19, s2
	v_add_co_u32 v38, s2, 0x2000, v18
	v_add_co_ci_u32_e64 v39, s2, 0, v19, s2
	v_add_co_u32 v52, s2, 0x3000, v18
	s_delay_alu instid0(VALU_DEP_1)
	v_add_co_ci_u32_e64 v53, s2, 0, v19, s2
	v_add_co_u32 v128, s2, 0x4000, v18
	s_load_b128 s[8:11], s[4:5], 0x0
	s_clause 0x3
	global_load_b128 v[0:3], v255, s[12:13]
	global_load_b128 v[4:7], v255, s[12:13] offset:1232
	global_load_b128 v[8:11], v255, s[12:13] offset:2464
	;; [unrolled: 1-line block ×3, first 2 shown]
	s_clause 0x1
	scratch_load_b64 v[16:17], off, off
	scratch_load_b32 v21, off, off offset:8
	v_add_co_ci_u32_e64 v129, s2, 0, v19, s2
	s_waitcnt lgkmcnt(0)
	s_mul_i32 s4, s9, 0x4d0
	s_mul_hi_u32 s5, s8, 0x4d0
	s_delay_alu instid0(SALU_CYCLE_1) | instskip(SKIP_2) | instid1(VALU_DEP_1)
	s_add_i32 s5, s5, s4
	s_waitcnt vmcnt(0)
	v_mad_u64_u32 v[40:41], null, s8, v21, 0
	v_dual_mov_b32 v20, v16 :: v_dual_mov_b32 v17, v41
	s_delay_alu instid0(VALU_DEP_1) | instskip(NEXT) | instid1(VALU_DEP_2)
	v_mad_u64_u32 v[36:37], null, s10, v20, 0
	v_mad_u64_u32 v[41:42], null, s9, v21, v[17:18]
	s_delay_alu instid0(VALU_DEP_2) | instskip(NEXT) | instid1(VALU_DEP_2)
	v_mov_b32_e32 v16, v37
	v_lshlrev_b64 v[40:41], 4, v[40:41]
	s_delay_alu instid0(VALU_DEP_2)
	v_mad_u64_u32 v[26:27], null, s11, v20, v[16:17]
	s_clause 0x1
	global_load_b128 v[16:19], v[24:25], off offset:832
	global_load_b128 v[20:23], v[24:25], off offset:2064
	v_mov_b32_e32 v37, v26
	s_clause 0x2
	global_load_b128 v[24:27], v[24:25], off offset:3296
	global_load_b128 v[28:31], v[38:39], off offset:432
	;; [unrolled: 1-line block ×3, first 2 shown]
	v_lshlrev_b64 v[42:43], 4, v[36:37]
	global_load_b128 v[36:39], v[38:39], off offset:2896
	v_add_co_u32 v42, s2, s6, v42
	s_delay_alu instid0(VALU_DEP_1) | instskip(SKIP_1) | instid1(VALU_DEP_2)
	v_add_co_ci_u32_e64 v43, s2, s7, v43, s2
	s_mul_i32 s6, s8, 0x4d0
	v_add_co_u32 v56, s2, v42, v40
	s_delay_alu instid0(VALU_DEP_1) | instskip(SKIP_4) | instid1(VALU_DEP_1)
	v_add_co_ci_u32_e64 v57, s2, v43, v41, s2
	s_clause 0x1
	global_load_b128 v[40:43], v[52:53], off offset:32
	global_load_b128 v[44:47], v[52:53], off offset:1264
	v_add_co_u32 v60, s2, v56, s6
	v_add_co_ci_u32_e64 v61, s2, s5, v57, s2
	s_clause 0x1
	global_load_b128 v[48:51], v[52:53], off offset:2496
	global_load_b128 v[52:55], v[52:53], off offset:3728
	v_add_co_u32 v64, s2, v60, s6
	s_delay_alu instid0(VALU_DEP_1) | instskip(SKIP_4) | instid1(VALU_DEP_1)
	v_add_co_ci_u32_e64 v65, s2, s5, v61, s2
	s_clause 0x1
	global_load_b128 v[56:59], v[56:57], off
	global_load_b128 v[60:63], v[60:61], off
	v_add_co_u32 v68, s2, v64, s6
	v_add_co_ci_u32_e64 v69, s2, s5, v65, s2
	s_delay_alu instid0(VALU_DEP_2) | instskip(NEXT) | instid1(VALU_DEP_1)
	v_add_co_u32 v72, s2, v68, s6
	v_add_co_ci_u32_e64 v73, s2, s5, v69, s2
	s_clause 0x1
	global_load_b128 v[64:67], v[64:65], off
	global_load_b128 v[68:71], v[68:69], off
	v_add_co_u32 v76, s2, v72, s6
	s_delay_alu instid0(VALU_DEP_1) | instskip(SKIP_2) | instid1(VALU_DEP_1)
	v_add_co_ci_u32_e64 v77, s2, s5, v73, s2
	global_load_b128 v[72:75], v[72:73], off
	v_add_co_u32 v80, s2, v76, s6
	v_add_co_ci_u32_e64 v81, s2, s5, v77, s2
	global_load_b128 v[76:79], v[76:77], off
	v_add_co_u32 v84, s2, v80, s6
	s_delay_alu instid0(VALU_DEP_1) | instskip(SKIP_2) | instid1(VALU_DEP_1)
	v_add_co_ci_u32_e64 v85, s2, s5, v81, s2
	global_load_b128 v[80:83], v[80:81], off
	v_add_co_u32 v88, s2, v84, s6
	v_add_co_ci_u32_e64 v89, s2, s5, v85, s2
	;; [unrolled: 7-line block ×6, first 2 shown]
	s_clause 0x1
	global_load_b128 v[116:119], v[128:129], off offset:864
	global_load_b128 v[120:123], v[128:129], off offset:2096
	global_load_b128 v[124:127], v[124:125], off
	global_load_b128 v[128:131], v[128:129], off offset:3328
	global_load_b128 v[132:135], v[132:133], off
	s_waitcnt vmcnt(19)
	v_mul_f64 v[136:137], v[58:59], v[2:3]
	v_mul_f64 v[2:3], v[56:57], v[2:3]
	s_waitcnt vmcnt(18)
	v_mul_f64 v[138:139], v[62:63], v[6:7]
	v_mul_f64 v[6:7], v[60:61], v[6:7]
	;; [unrolled: 3-line block ×14, first 2 shown]
	v_fma_f64 v[54:55], v[56:57], v[0:1], v[136:137]
	v_fma_f64 v[56:57], v[58:59], v[0:1], -v[2:3]
	v_fma_f64 v[0:1], v[60:61], v[4:5], v[138:139]
	v_fma_f64 v[2:3], v[62:63], v[4:5], -v[6:7]
	s_waitcnt vmcnt(4)
	v_mul_f64 v[166:167], v[114:115], v[118:119]
	v_mul_f64 v[118:119], v[112:113], v[118:119]
	s_waitcnt vmcnt(2)
	v_mul_f64 v[168:169], v[126:127], v[122:123]
	v_mul_f64 v[122:123], v[124:125], v[122:123]
	;; [unrolled: 3-line block ×3, first 2 shown]
	v_fma_f64 v[4:5], v[64:65], v[8:9], v[140:141]
	v_fma_f64 v[6:7], v[66:67], v[8:9], -v[10:11]
	v_fma_f64 v[8:9], v[68:69], v[12:13], v[142:143]
	v_fma_f64 v[10:11], v[70:71], v[12:13], -v[14:15]
	;; [unrolled: 2-line block ×15, first 2 shown]
	ds_store_b128 v255, v[54:57]
	ds_store_b128 v255, v[0:3] offset:1232
	ds_store_b128 v255, v[4:7] offset:2464
	ds_store_b128 v255, v[8:11] offset:3696
	ds_store_b128 v255, v[12:15] offset:4928
	ds_store_b128 v255, v[16:19] offset:6160
	ds_store_b128 v255, v[20:23] offset:7392
	ds_store_b128 v255, v[24:27] offset:8624
	ds_store_b128 v255, v[28:31] offset:9856
	ds_store_b128 v255, v[32:35] offset:11088
	ds_store_b128 v255, v[36:39] offset:12320
	ds_store_b128 v255, v[40:43] offset:13552
	ds_store_b128 v255, v[44:47] offset:14784
	ds_store_b128 v255, v[48:51] offset:16016
	ds_store_b128 v255, v[58:61] offset:17248
	ds_store_b128 v255, v[62:65] offset:18480
	ds_store_b128 v255, v[66:69] offset:19712
.LBB0_3:
	s_or_b32 exec_lo, exec_lo, s3
	s_waitcnt lgkmcnt(0)
	s_waitcnt_vscnt null, 0x0
	s_barrier
	buffer_gl0_inv
                                        ; implicit-def: $vgpr12_vgpr13
                                        ; implicit-def: $vgpr40_vgpr41
                                        ; implicit-def: $vgpr44_vgpr45
                                        ; implicit-def: $vgpr48_vgpr49
                                        ; implicit-def: $vgpr52_vgpr53
                                        ; implicit-def: $vgpr56_vgpr57
                                        ; implicit-def: $vgpr60_vgpr61
                                        ; implicit-def: $vgpr68_vgpr69
                                        ; implicit-def: $vgpr72_vgpr73
                                        ; implicit-def: $vgpr76_vgpr77
                                        ; implicit-def: $vgpr64_vgpr65
                                        ; implicit-def: $vgpr36_vgpr37
                                        ; implicit-def: $vgpr32_vgpr33
                                        ; implicit-def: $vgpr28_vgpr29
                                        ; implicit-def: $vgpr24_vgpr25
                                        ; implicit-def: $vgpr20_vgpr21
                                        ; implicit-def: $vgpr16_vgpr17
	s_and_saveexec_b32 s2, vcc_lo
	s_cbranch_execz .LBB0_5
; %bb.4:
	ds_load_b128 v[12:15], v255
	ds_load_b128 v[40:43], v255 offset:1232
	ds_load_b128 v[44:47], v255 offset:2464
	ds_load_b128 v[48:51], v255 offset:3696
	ds_load_b128 v[52:55], v255 offset:4928
	ds_load_b128 v[56:59], v255 offset:6160
	ds_load_b128 v[60:63], v255 offset:7392
	ds_load_b128 v[68:71], v255 offset:8624
	ds_load_b128 v[72:75], v255 offset:9856
	ds_load_b128 v[76:79], v255 offset:11088
	ds_load_b128 v[64:67], v255 offset:12320
	ds_load_b128 v[36:39], v255 offset:13552
	ds_load_b128 v[32:35], v255 offset:14784
	ds_load_b128 v[28:31], v255 offset:16016
	ds_load_b128 v[24:27], v255 offset:17248
	ds_load_b128 v[20:23], v255 offset:18480
	ds_load_b128 v[16:19], v255 offset:19712
.LBB0_5:
	s_or_b32 exec_lo, exec_lo, s2
	s_waitcnt lgkmcnt(0)
	v_add_f64 v[2:3], v[42:43], -v[18:19]
	s_mov_b32 s38, 0x5d8e7cdc
	s_mov_b32 s39, 0xbfd71e95
	v_add_f64 v[112:113], v[40:41], v[16:17]
	v_add_f64 v[0:1], v[40:41], -v[16:17]
	v_add_f64 v[118:119], v[46:47], -v[22:23]
	s_clause 0x1
	s_load_b64 s[4:5], s[0:1], 0x20
	s_load_b64 s[2:3], s[0:1], 0x8
	s_mov_b32 s0, 0x370991
	s_mov_b32 s46, 0x2a9d6da3
	;; [unrolled: 1-line block ×4, first 2 shown]
	v_add_f64 v[114:115], v[42:43], v[18:19]
	v_add_f64 v[108:109], v[44:45], v[20:21]
	v_add_f64 v[116:117], v[44:45], -v[20:21]
	s_mov_b32 s6, 0x75d4884
	s_mov_b32 s7, 0x3fe7a5f6
	v_add_f64 v[110:111], v[46:47], v[22:23]
	s_mov_b32 s42, 0xeb564b22
	s_mov_b32 s43, 0xbfefdd0d
	;; [unrolled: 1-line block ×21, first 2 shown]
	v_mul_f64 v[4:5], v[2:3], s[38:39]
	v_mul_f64 v[8:9], v[2:3], s[46:47]
	;; [unrolled: 1-line block ×10, first 2 shown]
	s_mov_b32 s31, 0xbfe0d888
	s_mov_b32 s51, 0x3fe0d888
	;; [unrolled: 1-line block ×3, first 2 shown]
	v_mul_f64 v[122:123], v[116:117], s[46:47]
	v_mul_f64 v[90:91], v[0:1], s[24:25]
	s_mov_b32 s20, 0x910ea3b9
	s_mov_b32 s21, 0xbfeb34fa
	v_mul_f64 v[92:93], v[2:3], s[26:27]
	s_mov_b32 s49, 0x3feec746
	s_mov_b32 s48, s24
	v_mul_f64 v[94:95], v[0:1], s[26:27]
	v_mul_f64 v[96:97], v[2:3], s[30:31]
	s_mov_b32 s29, 0x3feca52d
	s_mov_b32 s28, s36
	v_mul_f64 v[100:101], v[0:1], s[30:31]
	;; [unrolled: 4-line block ×3, first 2 shown]
	v_add_f64 v[144:145], v[48:49], v[24:25]
	v_add_f64 v[148:149], v[50:51], v[26:27]
	s_mov_b32 s41, 0x3fc7851a
	s_mov_b32 s40, s34
	v_add_f64 v[172:173], v[52:53], v[28:29]
	v_add_f64 v[176:177], v[54:55], v[30:31]
	s_mov_b32 s53, 0x3fe9895b
	s_mov_b32 s52, s26
	v_add_f64 v[201:202], v[56:57], v[32:33]
	scratch_store_b64 off, v[4:5], off offset:60 ; 8-byte Folded Spill
	v_fma_f64 v[4:5], v[112:113], s[0:1], v[4:5]
	scratch_store_b64 off, v[8:9], off offset:84 ; 8-byte Folded Spill
	v_fma_f64 v[8:9], v[112:113], s[6:7], v[8:9]
	scratch_store_b64 off, v[6:7], off offset:68 ; 8-byte Folded Spill
	v_fma_f64 v[6:7], v[114:115], s[0:1], -v[6:7]
	scratch_store_b64 off, v[120:121], off offset:224 ; 8-byte Folded Spill
	v_fma_f64 v[120:121], v[108:109], s[6:7], v[120:121]
	scratch_store_b64 off, v[10:11], off offset:100 ; 8-byte Folded Spill
	v_fma_f64 v[10:11], v[114:115], s[6:7], -v[10:11]
	s_clause 0x3
	scratch_store_b64 off, v[80:81], off offset:112
	scratch_store_b64 off, v[82:83], off offset:128
	;; [unrolled: 1-line block ×4, first 2 shown]
	v_fma_f64 v[80:81], v[112:113], s[8:9], v[80:81]
	v_fma_f64 v[82:83], v[114:115], s[8:9], -v[82:83]
	v_fma_f64 v[84:85], v[112:113], s[10:11], v[84:85]
	v_fma_f64 v[86:87], v[114:115], s[10:11], -v[86:87]
	s_clause 0x3
	scratch_store_b64 off, v[88:89], off offset:176
	scratch_store_b64 off, v[90:91], off offset:192
	scratch_store_b64 off, v[92:93], off offset:208
	scratch_store_b64 off, v[94:95], off offset:216
	v_fma_f64 v[88:89], v[112:113], s[16:17], v[88:89]
	v_fma_f64 v[90:91], v[114:115], s[16:17], -v[90:91]
	v_fma_f64 v[92:93], v[112:113], s[18:19], v[92:93]
	v_fma_f64 v[94:95], v[114:115], s[18:19], -v[94:95]
	v_fma_f64 v[98:99], v[112:113], s[20:21], -v[96:97]
	v_fma_f64 v[96:97], v[112:113], s[20:21], v[96:97]
	v_fma_f64 v[102:103], v[114:115], s[20:21], v[100:101]
	v_fma_f64 v[100:101], v[114:115], s[20:21], -v[100:101]
	v_fma_f64 v[104:105], v[112:113], s[22:23], -v[2:3]
	v_fma_f64 v[2:3], v[112:113], s[22:23], v[2:3]
	v_fma_f64 v[106:107], v[114:115], s[22:23], v[0:1]
	v_fma_f64 v[0:1], v[114:115], s[22:23], -v[0:1]
	v_add_f64 v[203:204], v[58:59], v[34:35]
	v_add_f64 v[229:230], v[60:61], v[36:37]
	;; [unrolled: 1-line block ×3, first 2 shown]
	v_add_f64 v[152:153], v[70:71], -v[66:67]
	v_add_f64 v[198:199], v[72:73], -v[76:77]
	v_add_f64 v[4:5], v[12:13], v[4:5]
	v_add_f64 v[209:210], v[74:75], -v[78:79]
	v_add_f64 v[8:9], v[12:13], v[8:9]
	v_add_f64 v[6:7], v[14:15], v[6:7]
	;; [unrolled: 1-line block ×19, first 2 shown]
	v_mul_f64 v[166:167], v[152:153], s[28:29]
	v_mul_f64 v[162:163], v[152:153], s[42:43]
	v_add_f64 v[4:5], v[120:121], v[4:5]
	v_fma_f64 v[120:121], v[110:111], s[6:7], -v[122:123]
	v_mul_f64 v[158:159], v[152:153], s[52:53]
	v_mul_f64 v[170:171], v[152:153], s[34:35]
	;; [unrolled: 1-line block ×7, first 2 shown]
	v_add_f64 v[6:7], v[120:121], v[6:7]
	v_mul_f64 v[120:121], v[118:119], s[42:43]
	scratch_store_b64 off, v[122:123], off offset:232 ; 8-byte Folded Spill
	v_mul_f64 v[122:123], v[116:117], s[42:43]
	scratch_store_b64 off, v[120:121], off offset:288 ; 8-byte Folded Spill
	v_fma_f64 v[120:121], v[108:109], s[10:11], v[120:121]
	scratch_store_b64 off, v[122:123], off offset:296 ; 8-byte Folded Spill
	v_add_f64 v[8:9], v[120:121], v[8:9]
	v_fma_f64 v[120:121], v[110:111], s[10:11], -v[122:123]
	v_mul_f64 v[122:123], v[116:117], s[26:27]
	s_delay_alu instid0(VALU_DEP_2)
	v_add_f64 v[10:11], v[120:121], v[10:11]
	v_mul_f64 v[120:121], v[118:119], s[26:27]
	s_clause 0x1
	scratch_store_b64 off, v[122:123], off offset:280
	scratch_store_b64 off, v[120:121], off offset:272
	v_fma_f64 v[120:121], v[108:109], s[18:19], v[120:121]
	s_delay_alu instid0(VALU_DEP_1) | instskip(SKIP_2) | instid1(VALU_DEP_2)
	v_add_f64 v[80:81], v[120:121], v[80:81]
	v_fma_f64 v[120:121], v[110:111], s[18:19], -v[122:123]
	v_mul_f64 v[122:123], v[116:117], s[34:35]
	v_add_f64 v[82:83], v[120:121], v[82:83]
	v_mul_f64 v[120:121], v[118:119], s[34:35]
	s_clause 0x1
	scratch_store_b64 off, v[122:123], off offset:264
	scratch_store_b64 off, v[120:121], off offset:256
	v_fma_f64 v[120:121], v[108:109], s[22:23], v[120:121]
	s_delay_alu instid0(VALU_DEP_1) | instskip(SKIP_2) | instid1(VALU_DEP_2)
	v_add_f64 v[84:85], v[120:121], v[84:85]
	v_fma_f64 v[120:121], v[110:111], s[22:23], -v[122:123]
	v_mul_f64 v[122:123], v[116:117], s[50:51]
	v_add_f64 v[86:87], v[120:121], v[86:87]
	v_mul_f64 v[120:121], v[118:119], s[50:51]
	scratch_store_b64 off, v[120:121], off offset:240 ; 8-byte Folded Spill
	v_fma_f64 v[120:121], v[108:109], s[20:21], v[120:121]
	s_delay_alu instid0(VALU_DEP_1) | instskip(SKIP_1) | instid1(VALU_DEP_1)
	v_add_f64 v[88:89], v[120:121], v[88:89]
	v_fma_f64 v[120:121], v[110:111], s[20:21], -v[122:123]
	v_add_f64 v[90:91], v[120:121], v[90:91]
	v_mul_f64 v[120:121], v[118:119], s[48:49]
	scratch_store_b64 off, v[122:123], off offset:248 ; 8-byte Folded Spill
	v_mul_f64 v[122:123], v[116:117], s[48:49]
	scratch_store_b64 off, v[120:121], off offset:304 ; 8-byte Folded Spill
	v_fma_f64 v[120:121], v[108:109], s[16:17], v[120:121]
	scratch_store_b64 off, v[122:123], off offset:312 ; 8-byte Folded Spill
	v_add_f64 v[92:93], v[120:121], v[92:93]
	v_fma_f64 v[120:121], v[110:111], s[16:17], -v[122:123]
	s_delay_alu instid0(VALU_DEP_1) | instskip(SKIP_2) | instid1(VALU_DEP_2)
	v_add_f64 v[94:95], v[120:121], v[94:95]
	v_mul_f64 v[120:121], v[118:119], s[28:29]
	v_mul_f64 v[118:119], v[118:119], s[44:45]
	v_fma_f64 v[122:123], v[108:109], s[8:9], -v[120:121]
	v_fma_f64 v[120:121], v[108:109], s[8:9], v[120:121]
	s_delay_alu instid0(VALU_DEP_2) | instskip(SKIP_1) | instid1(VALU_DEP_3)
	v_add_f64 v[98:99], v[122:123], v[98:99]
	v_mul_f64 v[122:123], v[116:117], s[28:29]
	v_add_f64 v[96:97], v[120:121], v[96:97]
	v_mul_f64 v[116:117], v[116:117], s[44:45]
	s_delay_alu instid0(VALU_DEP_3) | instskip(SKIP_1) | instid1(VALU_DEP_2)
	v_fma_f64 v[120:121], v[110:111], s[8:9], -v[122:123]
	v_fma_f64 v[124:125], v[110:111], s[8:9], v[122:123]
	v_add_f64 v[100:101], v[120:121], v[100:101]
	v_fma_f64 v[120:121], v[108:109], s[0:1], -v[118:119]
	v_fma_f64 v[118:119], v[108:109], s[0:1], v[118:119]
	s_delay_alu instid0(VALU_DEP_4) | instskip(NEXT) | instid1(VALU_DEP_3)
	v_add_f64 v[102:103], v[124:125], v[102:103]
	v_add_f64 v[104:105], v[120:121], v[104:105]
	v_fma_f64 v[120:121], v[110:111], s[0:1], v[116:117]
	s_delay_alu instid0(VALU_DEP_4) | instskip(SKIP_2) | instid1(VALU_DEP_4)
	v_add_f64 v[2:3], v[118:119], v[2:3]
	v_fma_f64 v[116:117], v[110:111], s[0:1], -v[116:117]
	v_add_f64 v[118:119], v[50:51], -v[26:27]
	v_add_f64 v[106:107], v[120:121], v[106:107]
	s_delay_alu instid0(VALU_DEP_3) | instskip(SKIP_1) | instid1(VALU_DEP_4)
	v_add_f64 v[0:1], v[116:117], v[0:1]
	v_add_f64 v[116:117], v[48:49], -v[24:25]
	v_mul_f64 v[120:121], v[118:119], s[36:37]
	s_delay_alu instid0(VALU_DEP_2) | instskip(SKIP_2) | instid1(VALU_DEP_1)
	v_mul_f64 v[122:123], v[116:117], s[36:37]
	scratch_store_b64 off, v[120:121], off offset:320 ; 8-byte Folded Spill
	v_fma_f64 v[120:121], v[144:145], s[8:9], v[120:121]
	v_add_f64 v[4:5], v[120:121], v[4:5]
	v_fma_f64 v[120:121], v[148:149], s[8:9], -v[122:123]
	s_delay_alu instid0(VALU_DEP_1)
	v_add_f64 v[6:7], v[120:121], v[6:7]
	v_mul_f64 v[120:121], v[118:119], s[26:27]
	scratch_store_b64 off, v[122:123], off offset:328 ; 8-byte Folded Spill
	v_mul_f64 v[122:123], v[116:117], s[26:27]
	scratch_store_b64 off, v[120:121], off offset:384 ; 8-byte Folded Spill
	v_fma_f64 v[120:121], v[144:145], s[18:19], v[120:121]
	scratch_store_b64 off, v[122:123], off offset:392 ; 8-byte Folded Spill
	v_add_f64 v[8:9], v[120:121], v[8:9]
	v_fma_f64 v[120:121], v[148:149], s[18:19], -v[122:123]
	v_mul_f64 v[122:123], v[116:117], s[40:41]
	s_delay_alu instid0(VALU_DEP_2)
	v_add_f64 v[10:11], v[120:121], v[10:11]
	v_mul_f64 v[120:121], v[118:119], s[40:41]
	s_mov_b32 s41, 0x3fe58eea
	s_mov_b32 s40, s46
	scratch_store_b64 off, v[122:123], off offset:376 ; 8-byte Folded Spill
	v_mul_f64 v[178:179], v[152:153], s[40:41]
	v_mul_f64 v[192:193], v[198:199], s[40:41]
	scratch_store_b64 off, v[120:121], off offset:368 ; 8-byte Folded Spill
	v_fma_f64 v[120:121], v[144:145], s[22:23], v[120:121]
	s_delay_alu instid0(VALU_DEP_1) | instskip(SKIP_2) | instid1(VALU_DEP_2)
	v_add_f64 v[80:81], v[120:121], v[80:81]
	v_fma_f64 v[120:121], v[148:149], s[22:23], -v[122:123]
	v_mul_f64 v[122:123], v[116:117], s[48:49]
	v_add_f64 v[82:83], v[120:121], v[82:83]
	v_mul_f64 v[120:121], v[118:119], s[48:49]
	s_clause 0x1
	scratch_store_b64 off, v[122:123], off offset:360
	scratch_store_b64 off, v[120:121], off offset:352
	v_fma_f64 v[120:121], v[144:145], s[16:17], v[120:121]
	s_delay_alu instid0(VALU_DEP_1) | instskip(SKIP_2) | instid1(VALU_DEP_2)
	v_add_f64 v[84:85], v[120:121], v[84:85]
	v_fma_f64 v[120:121], v[148:149], s[16:17], -v[122:123]
	v_mul_f64 v[122:123], v[116:117], s[40:41]
	v_add_f64 v[86:87], v[120:121], v[86:87]
	v_mul_f64 v[120:121], v[118:119], s[40:41]
	scratch_store_b64 off, v[120:121], off offset:336 ; 8-byte Folded Spill
	v_fma_f64 v[120:121], v[144:145], s[6:7], v[120:121]
	s_delay_alu instid0(VALU_DEP_1) | instskip(SKIP_1) | instid1(VALU_DEP_1)
	v_add_f64 v[88:89], v[120:121], v[88:89]
	v_fma_f64 v[120:121], v[148:149], s[6:7], -v[122:123]
	v_add_f64 v[90:91], v[120:121], v[90:91]
	v_mul_f64 v[120:121], v[118:119], s[38:39]
	scratch_store_b64 off, v[122:123], off offset:344 ; 8-byte Folded Spill
	v_mul_f64 v[122:123], v[116:117], s[38:39]
	scratch_store_b64 off, v[120:121], off offset:400 ; 8-byte Folded Spill
	v_fma_f64 v[120:121], v[144:145], s[0:1], v[120:121]
	scratch_store_b64 off, v[122:123], off offset:408 ; 8-byte Folded Spill
	v_add_f64 v[92:93], v[120:121], v[92:93]
	v_fma_f64 v[120:121], v[148:149], s[0:1], -v[122:123]
	s_delay_alu instid0(VALU_DEP_1) | instskip(SKIP_2) | instid1(VALU_DEP_2)
	v_add_f64 v[94:95], v[120:121], v[94:95]
	v_mul_f64 v[120:121], v[118:119], s[42:43]
	v_mul_f64 v[118:119], v[118:119], s[30:31]
	v_fma_f64 v[122:123], v[144:145], s[10:11], -v[120:121]
	v_fma_f64 v[120:121], v[144:145], s[10:11], v[120:121]
	s_delay_alu instid0(VALU_DEP_2) | instskip(SKIP_1) | instid1(VALU_DEP_3)
	v_add_f64 v[98:99], v[122:123], v[98:99]
	v_mul_f64 v[122:123], v[116:117], s[42:43]
	v_add_f64 v[96:97], v[120:121], v[96:97]
	v_mul_f64 v[116:117], v[116:117], s[30:31]
	s_delay_alu instid0(VALU_DEP_3) | instskip(SKIP_1) | instid1(VALU_DEP_2)
	v_fma_f64 v[120:121], v[148:149], s[10:11], -v[122:123]
	v_fma_f64 v[124:125], v[148:149], s[10:11], v[122:123]
	v_add_f64 v[100:101], v[120:121], v[100:101]
	v_fma_f64 v[120:121], v[144:145], s[20:21], -v[118:119]
	v_fma_f64 v[118:119], v[144:145], s[20:21], v[118:119]
	s_delay_alu instid0(VALU_DEP_4) | instskip(NEXT) | instid1(VALU_DEP_3)
	v_add_f64 v[102:103], v[124:125], v[102:103]
	v_add_f64 v[104:105], v[120:121], v[104:105]
	v_fma_f64 v[120:121], v[148:149], s[20:21], v[116:117]
	s_delay_alu instid0(VALU_DEP_4) | instskip(SKIP_2) | instid1(VALU_DEP_4)
	v_add_f64 v[2:3], v[118:119], v[2:3]
	v_fma_f64 v[116:117], v[148:149], s[20:21], -v[116:117]
	v_add_f64 v[118:119], v[54:55], -v[30:31]
	v_add_f64 v[106:107], v[120:121], v[106:107]
	s_delay_alu instid0(VALU_DEP_3) | instskip(SKIP_1) | instid1(VALU_DEP_4)
	v_add_f64 v[0:1], v[116:117], v[0:1]
	v_add_f64 v[116:117], v[52:53], -v[28:29]
	v_mul_f64 v[120:121], v[118:119], s[42:43]
	v_mul_f64 v[217:218], v[118:119], s[34:35]
	;; [unrolled: 1-line block ×3, first 2 shown]
	s_delay_alu instid0(VALU_DEP_4) | instskip(SKIP_4) | instid1(VALU_DEP_3)
	v_mul_f64 v[122:123], v[116:117], s[42:43]
	scratch_store_b64 off, v[120:121], off offset:416 ; 8-byte Folded Spill
	v_fma_f64 v[120:121], v[172:173], s[10:11], v[120:121]
	v_mul_f64 v[219:220], v[116:117], s[34:35]
	v_mul_f64 v[225:226], v[116:117], s[30:31]
	v_add_f64 v[4:5], v[120:121], v[4:5]
	v_fma_f64 v[120:121], v[176:177], s[10:11], -v[122:123]
	s_delay_alu instid0(VALU_DEP_1) | instskip(SKIP_1) | instid1(VALU_DEP_1)
	v_add_f64 v[6:7], v[120:121], v[6:7]
	v_fma_f64 v[120:121], v[172:173], s[22:23], v[217:218]
	v_add_f64 v[8:9], v[120:121], v[8:9]
	v_fma_f64 v[120:121], v[176:177], s[22:23], -v[219:220]
	s_delay_alu instid0(VALU_DEP_1)
	v_add_f64 v[10:11], v[120:121], v[10:11]
	v_mul_f64 v[120:121], v[118:119], s[48:49]
	scratch_store_b64 off, v[122:123], off offset:424 ; 8-byte Folded Spill
	v_mul_f64 v[122:123], v[116:117], s[48:49]
	scratch_store_b64 off, v[120:121], off offset:464 ; 8-byte Folded Spill
	v_fma_f64 v[120:121], v[172:173], s[16:17], v[120:121]
	scratch_store_b64 off, v[122:123], off offset:472 ; 8-byte Folded Spill
	v_add_f64 v[80:81], v[120:121], v[80:81]
	v_fma_f64 v[120:121], v[176:177], s[16:17], -v[122:123]
	v_mul_f64 v[122:123], v[116:117], s[44:45]
	s_delay_alu instid0(VALU_DEP_2)
	v_add_f64 v[82:83], v[120:121], v[82:83]
	v_mul_f64 v[120:121], v[118:119], s[44:45]
	s_clause 0x1
	scratch_store_b64 off, v[122:123], off offset:456
	scratch_store_b64 off, v[120:121], off offset:448
	v_fma_f64 v[120:121], v[172:173], s[0:1], v[120:121]
	s_delay_alu instid0(VALU_DEP_1) | instskip(SKIP_2) | instid1(VALU_DEP_2)
	v_add_f64 v[84:85], v[120:121], v[84:85]
	v_fma_f64 v[120:121], v[176:177], s[0:1], -v[122:123]
	v_mul_f64 v[122:123], v[116:117], s[36:37]
	v_add_f64 v[86:87], v[120:121], v[86:87]
	v_mul_f64 v[120:121], v[118:119], s[36:37]
	s_clause 0x1
	scratch_store_b64 off, v[122:123], off offset:440
	scratch_store_b64 off, v[120:121], off offset:432
	v_fma_f64 v[120:121], v[172:173], s[8:9], v[120:121]
	s_delay_alu instid0(VALU_DEP_1) | instskip(SKIP_1) | instid1(VALU_DEP_1)
	v_add_f64 v[88:89], v[120:121], v[88:89]
	v_fma_f64 v[120:121], v[176:177], s[8:9], -v[122:123]
	v_add_f64 v[90:91], v[120:121], v[90:91]
	v_fma_f64 v[120:121], v[172:173], s[20:21], v[221:222]
	s_delay_alu instid0(VALU_DEP_1) | instskip(SKIP_1) | instid1(VALU_DEP_1)
	v_add_f64 v[92:93], v[120:121], v[92:93]
	v_fma_f64 v[120:121], v[176:177], s[20:21], -v[225:226]
	v_add_f64 v[94:95], v[120:121], v[94:95]
	v_mul_f64 v[120:121], v[118:119], s[52:53]
	v_mul_f64 v[118:119], v[118:119], s[40:41]
	s_delay_alu instid0(VALU_DEP_2) | instskip(SKIP_1) | instid1(VALU_DEP_2)
	v_fma_f64 v[122:123], v[172:173], s[18:19], -v[120:121]
	v_fma_f64 v[120:121], v[172:173], s[18:19], v[120:121]
	v_add_f64 v[98:99], v[122:123], v[98:99]
	v_mul_f64 v[122:123], v[116:117], s[52:53]
	s_delay_alu instid0(VALU_DEP_3) | instskip(SKIP_1) | instid1(VALU_DEP_3)
	v_add_f64 v[96:97], v[120:121], v[96:97]
	v_mul_f64 v[116:117], v[116:117], s[40:41]
	v_fma_f64 v[120:121], v[176:177], s[18:19], -v[122:123]
	v_fma_f64 v[124:125], v[176:177], s[18:19], v[122:123]
	s_delay_alu instid0(VALU_DEP_2) | instskip(SKIP_2) | instid1(VALU_DEP_4)
	v_add_f64 v[100:101], v[120:121], v[100:101]
	v_fma_f64 v[120:121], v[172:173], s[6:7], -v[118:119]
	v_fma_f64 v[118:119], v[172:173], s[6:7], v[118:119]
	v_add_f64 v[102:103], v[124:125], v[102:103]
	s_delay_alu instid0(VALU_DEP_3) | instskip(SKIP_1) | instid1(VALU_DEP_4)
	v_add_f64 v[104:105], v[120:121], v[104:105]
	v_fma_f64 v[120:121], v[176:177], s[6:7], v[116:117]
	v_add_f64 v[2:3], v[118:119], v[2:3]
	v_fma_f64 v[116:117], v[176:177], s[6:7], -v[116:117]
	v_add_f64 v[118:119], v[58:59], -v[34:35]
	s_delay_alu instid0(VALU_DEP_4) | instskip(NEXT) | instid1(VALU_DEP_3)
	v_add_f64 v[106:107], v[120:121], v[106:107]
	v_add_f64 v[0:1], v[116:117], v[0:1]
	v_add_f64 v[116:117], v[56:57], -v[32:33]
	s_delay_alu instid0(VALU_DEP_4)
	v_mul_f64 v[223:224], v[118:119], s[24:25]
	v_mul_f64 v[245:246], v[118:119], s[50:51]
	;; [unrolled: 1-line block ×6, first 2 shown]
	v_fma_f64 v[120:121], v[201:202], s[16:17], v[223:224]
	v_mul_f64 v[247:248], v[116:117], s[50:51]
	v_mul_f64 v[243:244], v[116:117], s[40:41]
	;; [unrolled: 1-line block ×4, first 2 shown]
	s_mov_b32 s37, 0x3fefdd0d
	s_mov_b32 s36, s42
	s_delay_alu instid0(SALU_CYCLE_1) | instskip(SKIP_3) | instid1(VALU_DEP_1)
	v_mul_f64 v[249:250], v[118:119], s[36:37]
	v_mul_f64 v[251:252], v[116:117], s[36:37]
	v_add_f64 v[4:5], v[120:121], v[4:5]
	v_fma_f64 v[120:121], v[203:204], s[16:17], -v[227:228]
	v_add_f64 v[6:7], v[120:121], v[6:7]
	v_fma_f64 v[120:121], v[201:202], s[20:21], v[245:246]
	s_delay_alu instid0(VALU_DEP_1) | instskip(SKIP_1) | instid1(VALU_DEP_1)
	v_add_f64 v[8:9], v[120:121], v[8:9]
	v_fma_f64 v[120:121], v[203:204], s[20:21], -v[247:248]
	v_add_f64 v[10:11], v[120:121], v[10:11]
	v_fma_f64 v[120:121], v[201:202], s[6:7], v[241:242]
	s_delay_alu instid0(VALU_DEP_1) | instskip(SKIP_1) | instid1(VALU_DEP_1)
	;; [unrolled: 5-line block ×5, first 2 shown]
	v_add_f64 v[92:93], v[120:121], v[92:93]
	v_fma_f64 v[120:121], v[203:204], s[10:11], -v[251:252]
	v_add_f64 v[94:95], v[120:121], v[94:95]
	v_mul_f64 v[120:121], v[118:119], s[38:39]
	v_mul_f64 v[118:119], v[118:119], s[26:27]
	s_delay_alu instid0(VALU_DEP_2) | instskip(SKIP_1) | instid1(VALU_DEP_2)
	v_fma_f64 v[122:123], v[201:202], s[0:1], -v[120:121]
	v_fma_f64 v[120:121], v[201:202], s[0:1], v[120:121]
	v_add_f64 v[98:99], v[122:123], v[98:99]
	v_mul_f64 v[122:123], v[116:117], s[38:39]
	s_delay_alu instid0(VALU_DEP_3) | instskip(SKIP_1) | instid1(VALU_DEP_3)
	v_add_f64 v[96:97], v[120:121], v[96:97]
	v_mul_f64 v[116:117], v[116:117], s[26:27]
	v_fma_f64 v[120:121], v[203:204], s[0:1], -v[122:123]
	v_fma_f64 v[124:125], v[203:204], s[0:1], v[122:123]
	s_delay_alu instid0(VALU_DEP_2) | instskip(SKIP_2) | instid1(VALU_DEP_4)
	v_add_f64 v[100:101], v[120:121], v[100:101]
	v_fma_f64 v[120:121], v[201:202], s[18:19], -v[118:119]
	v_fma_f64 v[118:119], v[201:202], s[18:19], v[118:119]
	v_add_f64 v[102:103], v[124:125], v[102:103]
	s_delay_alu instid0(VALU_DEP_3) | instskip(SKIP_1) | instid1(VALU_DEP_4)
	v_add_f64 v[104:105], v[120:121], v[104:105]
	v_fma_f64 v[120:121], v[203:204], s[18:19], v[116:117]
	v_add_f64 v[2:3], v[118:119], v[2:3]
	v_fma_f64 v[116:117], v[203:204], s[18:19], -v[116:117]
	v_add_f64 v[118:119], v[60:61], -v[36:37]
	s_delay_alu instid0(VALU_DEP_4) | instskip(SKIP_1) | instid1(VALU_DEP_4)
	v_add_f64 v[106:107], v[120:121], v[106:107]
	v_add_f64 v[120:121], v[62:63], -v[38:39]
	v_add_f64 v[0:1], v[116:117], v[0:1]
	s_delay_alu instid0(VALU_DEP_4)
	v_mul_f64 v[116:117], v[118:119], s[26:27]
	v_mul_f64 v[136:137], v[118:119], s[48:49]
	;; [unrolled: 1-line block ×10, first 2 shown]
	s_delay_alu instid0(VALU_DEP_4) | instskip(NEXT) | instid1(VALU_DEP_1)
	v_fma_f64 v[122:123], v[229:230], s[18:19], v[253:254]
	v_add_f64 v[4:5], v[122:123], v[4:5]
	v_fma_f64 v[122:123], v[231:232], s[18:19], -v[116:117]
	s_delay_alu instid0(VALU_DEP_1) | instskip(SKIP_1) | instid1(VALU_DEP_1)
	v_add_f64 v[6:7], v[122:123], v[6:7]
	v_fma_f64 v[122:123], v[229:230], s[16:17], v[134:135]
	v_add_f64 v[8:9], v[122:123], v[8:9]
	v_fma_f64 v[122:123], v[231:232], s[16:17], -v[136:137]
	s_delay_alu instid0(VALU_DEP_1) | instskip(SKIP_1) | instid1(VALU_DEP_1)
	v_add_f64 v[10:11], v[122:123], v[10:11]
	;; [unrolled: 5-line block ×4, first 2 shown]
	v_mul_f64 v[122:123], v[120:121], s[36:37]
	v_fma_f64 v[138:139], v[229:230], s[10:11], v[122:123]
	s_delay_alu instid0(VALU_DEP_1) | instskip(SKIP_1) | instid1(VALU_DEP_1)
	v_add_f64 v[88:89], v[138:139], v[88:89]
	v_fma_f64 v[138:139], v[231:232], s[10:11], -v[124:125]
	v_add_f64 v[90:91], v[138:139], v[90:91]
	v_mul_f64 v[138:139], v[120:121], s[46:47]
	s_delay_alu instid0(VALU_DEP_1) | instskip(NEXT) | instid1(VALU_DEP_1)
	v_fma_f64 v[140:141], v[229:230], s[6:7], v[138:139]
	v_add_f64 v[92:93], v[140:141], v[92:93]
	v_fma_f64 v[140:141], v[231:232], s[6:7], -v[142:143]
	s_delay_alu instid0(VALU_DEP_1) | instskip(SKIP_2) | instid1(VALU_DEP_2)
	v_add_f64 v[94:95], v[140:141], v[94:95]
	v_mul_f64 v[140:141], v[120:121], s[34:35]
	v_mul_f64 v[120:121], v[120:121], s[28:29]
	v_fma_f64 v[146:147], v[229:230], s[22:23], -v[140:141]
	v_fma_f64 v[140:141], v[229:230], s[22:23], v[140:141]
	s_delay_alu instid0(VALU_DEP_2) | instskip(SKIP_1) | instid1(VALU_DEP_3)
	v_add_f64 v[98:99], v[146:147], v[98:99]
	v_mul_f64 v[146:147], v[118:119], s[34:35]
	v_add_f64 v[96:97], v[140:141], v[96:97]
	v_mul_f64 v[118:119], v[118:119], s[28:29]
	s_delay_alu instid0(VALU_DEP_3) | instskip(SKIP_1) | instid1(VALU_DEP_2)
	v_fma_f64 v[140:141], v[231:232], s[22:23], -v[146:147]
	v_fma_f64 v[150:151], v[231:232], s[22:23], v[146:147]
	v_add_f64 v[100:101], v[140:141], v[100:101]
	v_fma_f64 v[140:141], v[229:230], s[8:9], -v[120:121]
	s_delay_alu instid0(VALU_DEP_3) | instskip(SKIP_2) | instid1(VALU_DEP_4)
	v_add_f64 v[102:103], v[150:151], v[102:103]
	v_fma_f64 v[120:121], v[229:230], s[8:9], v[120:121]
	v_add_f64 v[150:151], v[68:69], -v[64:65]
	v_add_f64 v[104:105], v[140:141], v[104:105]
	v_fma_f64 v[140:141], v[231:232], s[8:9], v[118:119]
	v_fma_f64 v[118:119], v[231:232], s[8:9], -v[118:119]
	v_add_f64 v[2:3], v[120:121], v[2:3]
	v_add_f64 v[120:121], v[70:71], v[66:67]
	v_mul_f64 v[146:147], v[150:151], s[30:31]
	v_mul_f64 v[168:169], v[150:151], s[28:29]
	;; [unrolled: 1-line block ×6, first 2 shown]
	v_add_f64 v[106:107], v[140:141], v[106:107]
	v_add_f64 v[0:1], v[118:119], v[0:1]
	;; [unrolled: 1-line block ×3, first 2 shown]
	v_mul_f64 v[140:141], v[152:153], s[30:31]
	s_delay_alu instid0(VALU_DEP_1) | instskip(NEXT) | instid1(VALU_DEP_1)
	v_fma_f64 v[154:155], v[118:119], s[20:21], v[140:141]
	v_add_f64 v[4:5], v[154:155], v[4:5]
	v_fma_f64 v[154:155], v[120:121], s[20:21], -v[146:147]
	s_delay_alu instid0(VALU_DEP_1) | instskip(SKIP_1) | instid1(VALU_DEP_1)
	v_add_f64 v[6:7], v[154:155], v[6:7]
	v_fma_f64 v[154:155], v[118:119], s[8:9], v[166:167]
	v_add_f64 v[186:187], v[154:155], v[8:9]
	v_fma_f64 v[8:9], v[120:121], s[8:9], -v[168:169]
	v_mul_f64 v[154:155], v[152:153], s[38:39]
	v_mul_f64 v[152:153], v[152:153], s[24:25]
	s_delay_alu instid0(VALU_DEP_3) | instskip(SKIP_2) | instid1(VALU_DEP_2)
	v_add_f64 v[188:189], v[8:9], v[10:11]
	v_fma_f64 v[8:9], v[118:119], s[10:11], v[162:163]
	v_fma_f64 v[10:11], v[120:121], s[10:11], -v[164:165]
	v_add_f64 v[8:9], v[8:9], v[80:81]
	v_fma_f64 v[80:81], v[118:119], s[18:19], v[158:159]
	s_delay_alu instid0(VALU_DEP_3) | instskip(SKIP_1) | instid1(VALU_DEP_3)
	v_add_f64 v[10:11], v[10:11], v[82:83]
	v_fma_f64 v[82:83], v[120:121], s[18:19], -v[160:161]
	v_add_f64 v[80:81], v[80:81], v[84:85]
	v_fma_f64 v[84:85], v[118:119], s[0:1], v[154:155]
	s_delay_alu instid0(VALU_DEP_3) | instskip(NEXT) | instid1(VALU_DEP_2)
	v_add_f64 v[82:83], v[82:83], v[86:87]
	v_add_f64 v[88:89], v[84:85], v[88:89]
	v_fma_f64 v[84:85], v[120:121], s[0:1], -v[156:157]
	s_delay_alu instid0(VALU_DEP_1) | instskip(SKIP_1) | instid1(VALU_DEP_1)
	v_add_f64 v[90:91], v[84:85], v[90:91]
	v_fma_f64 v[84:85], v[118:119], s[22:23], v[170:171]
	v_add_f64 v[92:93], v[84:85], v[92:93]
	v_fma_f64 v[84:85], v[120:121], s[22:23], -v[174:175]
	s_delay_alu instid0(VALU_DEP_1) | instskip(SKIP_1) | instid1(VALU_DEP_1)
	v_add_f64 v[94:95], v[84:85], v[94:95]
	v_fma_f64 v[84:85], v[118:119], s[6:7], -v[178:179]
	v_add_f64 v[84:85], v[84:85], v[98:99]
	v_mul_f64 v[98:99], v[150:151], s[40:41]
	v_mul_f64 v[150:151], v[150:151], s[24:25]
	s_delay_alu instid0(VALU_DEP_2) | instskip(SKIP_1) | instid1(VALU_DEP_2)
	v_fma_f64 v[86:87], v[120:121], s[6:7], v[98:99]
	v_fma_f64 v[98:99], v[120:121], s[6:7], -v[98:99]
	v_add_f64 v[86:87], v[86:87], v[102:103]
	s_delay_alu instid0(VALU_DEP_2) | instskip(SKIP_3) | instid1(VALU_DEP_3)
	v_add_f64 v[98:99], v[98:99], v[100:101]
	v_fma_f64 v[100:101], v[118:119], s[16:17], -v[152:153]
	v_fma_f64 v[102:103], v[118:119], s[6:7], v[178:179]
	v_mul_f64 v[178:179], v[209:210], s[34:35]
	v_add_f64 v[100:101], v[100:101], v[104:105]
	v_fma_f64 v[104:105], v[118:119], s[16:17], v[152:153]
	s_delay_alu instid0(VALU_DEP_4) | instskip(SKIP_2) | instid1(VALU_DEP_4)
	v_add_f64 v[96:97], v[102:103], v[96:97]
	v_fma_f64 v[102:103], v[120:121], s[16:17], v[150:151]
	v_add_f64 v[152:153], v[74:75], v[78:79]
	v_add_f64 v[104:105], v[104:105], v[2:3]
	v_fma_f64 v[2:3], v[120:121], s[16:17], -v[150:151]
	v_add_f64 v[150:151], v[72:73], v[76:77]
	v_add_f64 v[102:103], v[102:103], v[106:107]
	s_delay_alu instid0(VALU_DEP_3) | instskip(NEXT) | instid1(VALU_DEP_3)
	v_add_f64 v[106:107], v[2:3], v[0:1]
	v_fma_f64 v[0:1], v[150:151], s[22:23], v[178:179]
	v_fma_f64 v[2:3], v[152:153], s[22:23], -v[180:181]
	s_delay_alu instid0(VALU_DEP_2) | instskip(NEXT) | instid1(VALU_DEP_2)
	v_add_f64 v[0:1], v[0:1], v[4:5]
	v_add_f64 v[2:3], v[2:3], v[6:7]
	v_fma_f64 v[4:5], v[150:151], s[0:1], v[182:183]
	v_fma_f64 v[6:7], v[152:153], s[0:1], -v[184:185]
	scratch_store_b128 off, v[0:3], off offset:12 ; 16-byte Folded Spill
	v_add_f64 v[0:1], v[4:5], v[186:187]
	v_mul_f64 v[186:187], v[209:210], s[30:31]
	v_add_f64 v[2:3], v[6:7], v[188:189]
	v_mul_f64 v[188:189], v[198:199], s[30:31]
	s_delay_alu instid0(VALU_DEP_3) | instskip(SKIP_3) | instid1(VALU_DEP_1)
	v_fma_f64 v[190:191], v[150:151], s[20:21], v[186:187]
	scratch_store_b128 off, v[0:3], off offset:28 ; 16-byte Folded Spill
	v_add_f64 v[0:1], v[190:191], v[8:9]
	v_fma_f64 v[190:191], v[152:153], s[20:21], -v[188:189]
	v_add_f64 v[2:3], v[190:191], v[10:11]
	v_mul_f64 v[190:191], v[209:210], s[40:41]
	scratch_store_b128 off, v[0:3], off offset:44 ; 16-byte Folded Spill
	v_fma_f64 v[194:195], v[150:151], s[6:7], v[190:191]
	s_waitcnt lgkmcnt(0)
	s_waitcnt_vscnt null, 0x0
	s_barrier
	buffer_gl0_inv
	scratch_load_b32 v5, off, off offset:8  ; 4-byte Folded Reload
	v_add_f64 v[80:81], v[194:195], v[80:81]
	v_fma_f64 v[194:195], v[152:153], s[6:7], -v[192:193]
	s_delay_alu instid0(VALU_DEP_1) | instskip(SKIP_1) | instid1(VALU_DEP_1)
	v_add_f64 v[82:83], v[194:195], v[82:83]
	v_mul_f64 v[194:195], v[209:210], s[26:27]
	v_fma_f64 v[205:206], v[150:151], s[18:19], v[194:195]
	s_delay_alu instid0(VALU_DEP_1) | instskip(SKIP_1) | instid1(VALU_DEP_1)
	v_add_f64 v[88:89], v[205:206], v[88:89]
	v_fma_f64 v[205:206], v[152:153], s[18:19], -v[196:197]
	v_add_f64 v[90:91], v[205:206], v[90:91]
	v_mul_f64 v[205:206], v[209:210], s[28:29]
	s_delay_alu instid0(VALU_DEP_1) | instskip(NEXT) | instid1(VALU_DEP_1)
	v_fma_f64 v[211:212], v[150:151], s[8:9], v[205:206]
	v_add_f64 v[92:93], v[211:212], v[92:93]
	v_fma_f64 v[211:212], v[152:153], s[8:9], -v[207:208]
	s_delay_alu instid0(VALU_DEP_1)
	v_add_f64 v[94:95], v[211:212], v[94:95]
	v_mul_f64 v[211:212], v[209:210], s[24:25]
	v_mul_f64 v[209:210], v[209:210], s[36:37]
	s_waitcnt vmcnt(0)
	v_mul_lo_u16 v0, v5, 17
	scratch_store_b32 off, v0, off offset:108 ; 4-byte Folded Spill
	v_fma_f64 v[213:214], v[150:151], s[16:17], -v[211:212]
	v_fma_f64 v[211:212], v[150:151], s[16:17], v[211:212]
	s_delay_alu instid0(VALU_DEP_2) | instskip(SKIP_1) | instid1(VALU_DEP_3)
	v_add_f64 v[84:85], v[213:214], v[84:85]
	v_mul_f64 v[213:214], v[198:199], s[24:25]
	v_add_f64 v[96:97], v[211:212], v[96:97]
	v_mul_f64 v[198:199], v[198:199], s[36:37]
	s_delay_alu instid0(VALU_DEP_3) | instskip(SKIP_1) | instid1(VALU_DEP_2)
	v_fma_f64 v[211:212], v[152:153], s[16:17], -v[213:214]
	v_fma_f64 v[215:216], v[152:153], s[16:17], v[213:214]
	v_add_f64 v[98:99], v[211:212], v[98:99]
	v_fma_f64 v[211:212], v[150:151], s[10:11], -v[209:210]
	v_fma_f64 v[209:210], v[150:151], s[10:11], v[209:210]
	s_delay_alu instid0(VALU_DEP_4) | instskip(NEXT) | instid1(VALU_DEP_3)
	v_add_f64 v[86:87], v[215:216], v[86:87]
	v_add_f64 v[100:101], v[211:212], v[100:101]
	v_fma_f64 v[211:212], v[152:153], s[10:11], v[198:199]
	v_fma_f64 v[198:199], v[152:153], s[10:11], -v[198:199]
	v_add_f64 v[104:105], v[209:210], v[104:105]
	s_delay_alu instid0(VALU_DEP_3) | instskip(NEXT) | instid1(VALU_DEP_3)
	v_add_f64 v[102:103], v[211:212], v[102:103]
	v_add_f64 v[106:107], v[198:199], v[106:107]
	s_and_saveexec_b32 s24, vcc_lo
	s_cbranch_execz .LBB0_7
; %bb.6:
	v_add_f64 v[40:41], v[12:13], v[40:41]
	scratch_load_b64 v[0:1], off, off offset:216 ; 8-byte Folded Reload
	v_add_f64 v[42:43], v[14:15], v[42:43]
	v_add_f64 v[40:41], v[40:41], v[44:45]
	s_delay_alu instid0(VALU_DEP_2) | instskip(NEXT) | instid1(VALU_DEP_2)
	v_add_f64 v[42:43], v[42:43], v[46:47]
	v_add_f64 v[40:41], v[40:41], v[48:49]
	v_mul_f64 v[48:49], v[144:145], s[0:1]
	s_delay_alu instid0(VALU_DEP_3) | instskip(SKIP_1) | instid1(VALU_DEP_4)
	v_add_f64 v[42:43], v[42:43], v[50:51]
	v_mul_f64 v[50:51], v[108:109], s[16:17]
	v_add_f64 v[40:41], v[40:41], v[52:53]
	v_mul_f64 v[52:53], v[203:204], s[10:11]
	s_delay_alu instid0(VALU_DEP_4) | instskip(SKIP_1) | instid1(VALU_DEP_4)
	v_add_f64 v[42:43], v[42:43], v[54:55]
	v_mul_f64 v[54:55], v[201:202], s[10:11]
	v_add_f64 v[40:41], v[40:41], v[56:57]
	s_delay_alu instid0(VALU_DEP_4) | instskip(NEXT) | instid1(VALU_DEP_4)
	v_add_f64 v[52:53], v[251:252], v[52:53]
	v_add_f64 v[42:43], v[42:43], v[58:59]
	v_mul_f64 v[56:57], v[231:232], s[6:7]
	v_add_f64 v[54:55], v[54:55], -v[249:250]
	v_add_f64 v[40:41], v[40:41], v[60:61]
	s_delay_alu instid0(VALU_DEP_4) | instskip(NEXT) | instid1(VALU_DEP_4)
	v_add_f64 v[42:43], v[42:43], v[62:63]
	v_add_f64 v[56:57], v[142:143], v[56:57]
	s_delay_alu instid0(VALU_DEP_3) | instskip(NEXT) | instid1(VALU_DEP_3)
	v_add_f64 v[40:41], v[40:41], v[68:69]
	v_add_f64 v[42:43], v[42:43], v[70:71]
	s_delay_alu instid0(VALU_DEP_2) | instskip(NEXT) | instid1(VALU_DEP_2)
	v_add_f64 v[40:41], v[40:41], v[72:73]
	v_add_f64 v[42:43], v[42:43], v[74:75]
	s_delay_alu instid0(VALU_DEP_2) | instskip(NEXT) | instid1(VALU_DEP_2)
	;; [unrolled: 3-line block ×3, first 2 shown]
	v_add_f64 v[40:41], v[40:41], v[64:65]
	v_add_f64 v[42:43], v[42:43], v[66:67]
	s_delay_alu instid0(VALU_DEP_2) | instskip(SKIP_1) | instid1(VALU_DEP_3)
	v_add_f64 v[36:37], v[40:41], v[36:37]
	v_mul_f64 v[40:41], v[114:115], s[0:1]
	v_add_f64 v[38:39], v[42:43], v[38:39]
	v_mul_f64 v[42:43], v[112:113], s[0:1]
	s_delay_alu instid0(VALU_DEP_4) | instskip(SKIP_1) | instid1(VALU_DEP_4)
	v_add_f64 v[32:33], v[36:37], v[32:33]
	v_mul_f64 v[36:37], v[114:115], s[6:7]
	v_add_f64 v[34:35], v[38:39], v[34:35]
	v_mul_f64 v[38:39], v[112:113], s[6:7]
	s_delay_alu instid0(VALU_DEP_4) | instskip(SKIP_1) | instid1(VALU_DEP_4)
	;; [unrolled: 5-line block ×5, first 2 shown]
	v_add_f64 v[16:17], v[20:21], v[16:17]
	v_mul_f64 v[20:21], v[114:115], s[18:19]
	v_add_f64 v[18:19], v[22:23], v[18:19]
	v_mul_f64 v[22:23], v[112:113], s[18:19]
	s_waitcnt vmcnt(0)
	s_delay_alu instid0(VALU_DEP_3)
	v_add_f64 v[20:21], v[0:1], v[20:21]
	scratch_load_b64 v[0:1], off, off offset:208 ; 8-byte Folded Reload
	v_add_f64 v[20:21], v[14:15], v[20:21]
	s_waitcnt vmcnt(0)
	v_add_f64 v[22:23], v[22:23], -v[0:1]
	scratch_load_b64 v[0:1], off, off offset:192 ; 8-byte Folded Reload
	v_add_f64 v[22:23], v[12:13], v[22:23]
	s_waitcnt vmcnt(0)
	v_add_f64 v[24:25], v[0:1], v[24:25]
	scratch_load_b64 v[0:1], off, off offset:176 ; 8-byte Folded Reload
	v_add_f64 v[44:45], v[14:15], v[24:25]
	s_waitcnt vmcnt(0)
	v_add_f64 v[26:27], v[26:27], -v[0:1]
	scratch_load_b64 v[0:1], off, off offset:160 ; 8-byte Folded Reload
	v_add_f64 v[46:47], v[12:13], v[26:27]
	s_waitcnt vmcnt(0)
	;; [unrolled: 8-line block ×5, first 2 shown]
	v_add_f64 v[40:41], v[0:1], v[40:41]
	scratch_load_b64 v[0:1], off, off offset:60 ; 8-byte Folded Reload
	v_add_f64 v[36:37], v[14:15], v[40:41]
	v_mul_f64 v[14:15], v[148:149], s[0:1]
	v_mul_f64 v[40:41], v[110:111], s[16:17]
	s_waitcnt vmcnt(0)
	v_add_f64 v[42:43], v[42:43], -v[0:1]
	scratch_load_b64 v[0:1], off, off offset:408 ; 8-byte Folded Reload
	v_add_f64 v[38:39], v[12:13], v[42:43]
	v_mul_f64 v[12:13], v[176:177], s[20:21]
	v_mul_f64 v[42:43], v[172:173], s[20:21]
	s_delay_alu instid0(VALU_DEP_2) | instskip(NEXT) | instid1(VALU_DEP_2)
	v_add_f64 v[12:13], v[225:226], v[12:13]
	v_add_f64 v[42:43], v[42:43], -v[221:222]
	s_waitcnt vmcnt(0)
	v_add_f64 v[14:15], v[0:1], v[14:15]
	scratch_load_b64 v[0:1], off, off offset:312 ; 8-byte Folded Reload
	s_waitcnt vmcnt(0)
	v_add_f64 v[40:41], v[0:1], v[40:41]
	scratch_load_b64 v[0:1], off, off offset:400 ; 8-byte Folded Reload
	v_add_f64 v[20:21], v[40:41], v[20:21]
	v_mul_f64 v[40:41], v[229:230], s[6:7]
	s_delay_alu instid0(VALU_DEP_2) | instskip(NEXT) | instid1(VALU_DEP_2)
	v_add_f64 v[14:15], v[14:15], v[20:21]
	v_add_f64 v[40:41], v[40:41], -v[138:139]
	s_delay_alu instid0(VALU_DEP_2) | instskip(NEXT) | instid1(VALU_DEP_1)
	v_add_f64 v[12:13], v[12:13], v[14:15]
	v_add_f64 v[12:13], v[52:53], v[12:13]
	v_mul_f64 v[52:53], v[203:204], s[20:21]
	s_delay_alu instid0(VALU_DEP_2) | instskip(NEXT) | instid1(VALU_DEP_2)
	v_add_f64 v[12:13], v[56:57], v[12:13]
	v_add_f64 v[52:53], v[247:248], v[52:53]
	v_mul_f64 v[56:57], v[231:232], s[16:17]
	s_delay_alu instid0(VALU_DEP_1)
	v_add_f64 v[56:57], v[136:137], v[56:57]
	s_waitcnt vmcnt(0)
	v_add_f64 v[48:49], v[48:49], -v[0:1]
	scratch_load_b64 v[0:1], off, off offset:304 ; 8-byte Folded Reload
	s_waitcnt vmcnt(0)
	v_add_f64 v[50:51], v[50:51], -v[0:1]
	scratch_load_b64 v[0:1], off, off offset:392 ; 8-byte Folded Reload
	v_add_f64 v[22:23], v[50:51], v[22:23]
	v_mul_f64 v[50:51], v[108:109], s[10:11]
	s_delay_alu instid0(VALU_DEP_2) | instskip(SKIP_2) | instid1(VALU_DEP_3)
	v_add_f64 v[20:21], v[48:49], v[22:23]
	v_mul_f64 v[22:23], v[120:121], s[22:23]
	v_mul_f64 v[48:49], v[144:145], s[18:19]
	v_add_f64 v[14:15], v[42:43], v[20:21]
	s_delay_alu instid0(VALU_DEP_3) | instskip(SKIP_2) | instid1(VALU_DEP_4)
	v_add_f64 v[22:23], v[174:175], v[22:23]
	v_mul_f64 v[20:21], v[118:119], s[22:23]
	v_mul_f64 v[42:43], v[152:153], s[8:9]
	v_add_f64 v[14:15], v[54:55], v[14:15]
	s_delay_alu instid0(VALU_DEP_4)
	v_add_f64 v[12:13], v[22:23], v[12:13]
	v_mul_f64 v[22:23], v[148:149], s[18:19]
	v_add_f64 v[20:21], v[20:21], -v[170:171]
	v_add_f64 v[42:43], v[207:208], v[42:43]
	v_mul_f64 v[54:55], v[201:202], s[20:21]
	v_add_f64 v[14:15], v[40:41], v[14:15]
	v_mul_f64 v[40:41], v[150:151], s[8:9]
	s_delay_alu instid0(VALU_DEP_3) | instskip(NEXT) | instid1(VALU_DEP_3)
	v_add_f64 v[54:55], v[54:55], -v[245:246]
	v_add_f64 v[20:21], v[20:21], v[14:15]
	s_delay_alu instid0(VALU_DEP_3) | instskip(SKIP_2) | instid1(VALU_DEP_3)
	v_add_f64 v[40:41], v[40:41], -v[205:206]
	v_add_f64 v[14:15], v[42:43], v[12:13]
	v_mul_f64 v[42:43], v[172:173], s[22:23]
	v_add_f64 v[12:13], v[40:41], v[20:21]
	v_mul_f64 v[40:41], v[110:111], s[10:11]
	v_mul_f64 v[20:21], v[176:177], s[22:23]
	s_delay_alu instid0(VALU_DEP_4) | instskip(NEXT) | instid1(VALU_DEP_2)
	v_add_f64 v[42:43], v[42:43], -v[217:218]
	v_add_f64 v[20:21], v[219:220], v[20:21]
	s_waitcnt vmcnt(0)
	v_add_f64 v[22:23], v[0:1], v[22:23]
	scratch_load_b64 v[0:1], off, off offset:296 ; 8-byte Folded Reload
	s_waitcnt vmcnt(0)
	v_add_f64 v[40:41], v[0:1], v[40:41]
	scratch_load_b64 v[0:1], off, off offset:384 ; 8-byte Folded Reload
	v_add_f64 v[32:33], v[40:41], v[32:33]
	v_mul_f64 v[40:41], v[229:230], s[16:17]
	s_delay_alu instid0(VALU_DEP_2) | instskip(NEXT) | instid1(VALU_DEP_2)
	v_add_f64 v[22:23], v[22:23], v[32:33]
	v_add_f64 v[40:41], v[40:41], -v[134:135]
	s_delay_alu instid0(VALU_DEP_2) | instskip(NEXT) | instid1(VALU_DEP_1)
	v_add_f64 v[20:21], v[20:21], v[22:23]
	v_add_f64 v[20:21], v[52:53], v[20:21]
	v_mul_f64 v[52:53], v[203:204], s[6:7]
	s_delay_alu instid0(VALU_DEP_2) | instskip(NEXT) | instid1(VALU_DEP_2)
	v_add_f64 v[20:21], v[56:57], v[20:21]
	v_add_f64 v[52:53], v[243:244], v[52:53]
	v_mul_f64 v[56:57], v[231:232], s[0:1]
	s_delay_alu instid0(VALU_DEP_1)
	v_add_f64 v[56:57], v[132:133], v[56:57]
	s_waitcnt vmcnt(0)
	v_add_f64 v[48:49], v[48:49], -v[0:1]
	scratch_load_b64 v[0:1], off, off offset:288 ; 8-byte Folded Reload
	s_waitcnt vmcnt(0)
	v_add_f64 v[50:51], v[50:51], -v[0:1]
	scratch_load_b64 v[0:1], off, off offset:472 ; 8-byte Folded Reload
	v_add_f64 v[34:35], v[50:51], v[34:35]
	v_mul_f64 v[50:51], v[108:109], s[18:19]
	s_delay_alu instid0(VALU_DEP_2) | instskip(SKIP_2) | instid1(VALU_DEP_3)
	v_add_f64 v[32:33], v[48:49], v[34:35]
	v_mul_f64 v[34:35], v[120:121], s[8:9]
	v_mul_f64 v[48:49], v[144:145], s[22:23]
	v_add_f64 v[22:23], v[42:43], v[32:33]
	v_mul_f64 v[32:33], v[118:119], s[8:9]
	s_delay_alu instid0(VALU_DEP_4) | instskip(SKIP_1) | instid1(VALU_DEP_4)
	v_add_f64 v[34:35], v[168:169], v[34:35]
	v_mul_f64 v[42:43], v[152:153], s[0:1]
	v_add_f64 v[22:23], v[54:55], v[22:23]
	s_delay_alu instid0(VALU_DEP_4) | instskip(NEXT) | instid1(VALU_DEP_4)
	v_add_f64 v[32:33], v[32:33], -v[166:167]
	v_add_f64 v[20:21], v[34:35], v[20:21]
	s_delay_alu instid0(VALU_DEP_4) | instskip(SKIP_4) | instid1(VALU_DEP_3)
	v_add_f64 v[42:43], v[184:185], v[42:43]
	v_mul_f64 v[34:35], v[148:149], s[22:23]
	v_mul_f64 v[54:55], v[201:202], s[6:7]
	v_add_f64 v[22:23], v[40:41], v[22:23]
	v_mul_f64 v[40:41], v[150:151], s[0:1]
	v_add_f64 v[54:55], v[54:55], -v[241:242]
	s_delay_alu instid0(VALU_DEP_3) | instskip(NEXT) | instid1(VALU_DEP_3)
	v_add_f64 v[32:33], v[32:33], v[22:23]
	v_add_f64 v[40:41], v[40:41], -v[182:183]
	v_add_f64 v[22:23], v[42:43], v[20:21]
	v_mul_f64 v[42:43], v[172:173], s[16:17]
	s_delay_alu instid0(VALU_DEP_3) | instskip(SKIP_3) | instid1(VALU_DEP_2)
	v_add_f64 v[20:21], v[40:41], v[32:33]
	v_mul_f64 v[32:33], v[176:177], s[16:17]
	v_mul_f64 v[40:41], v[110:111], s[18:19]
	s_waitcnt vmcnt(0)
	v_add_f64 v[32:33], v[0:1], v[32:33]
	scratch_load_b64 v[0:1], off, off offset:376 ; 8-byte Folded Reload
	s_waitcnt vmcnt(0)
	v_add_f64 v[34:35], v[0:1], v[34:35]
	scratch_load_b64 v[0:1], off, off offset:280 ; 8-byte Folded Reload
	;; [unrolled: 3-line block ×3, first 2 shown]
	v_add_f64 v[24:25], v[40:41], v[24:25]
	v_mul_f64 v[40:41], v[229:230], s[0:1]
	s_delay_alu instid0(VALU_DEP_2) | instskip(NEXT) | instid1(VALU_DEP_2)
	v_add_f64 v[24:25], v[34:35], v[24:25]
	v_add_f64 v[40:41], v[40:41], -v[130:131]
	v_mul_f64 v[34:35], v[120:121], s[10:11]
	s_delay_alu instid0(VALU_DEP_3) | instskip(SKIP_1) | instid1(VALU_DEP_3)
	v_add_f64 v[24:25], v[32:33], v[24:25]
	v_mul_f64 v[32:33], v[118:119], s[10:11]
	v_add_f64 v[34:35], v[164:165], v[34:35]
	s_delay_alu instid0(VALU_DEP_3) | instskip(NEXT) | instid1(VALU_DEP_3)
	v_add_f64 v[24:25], v[52:53], v[24:25]
	v_add_f64 v[32:33], v[32:33], -v[162:163]
	v_mul_f64 v[52:53], v[203:204], s[8:9]
	s_delay_alu instid0(VALU_DEP_3) | instskip(SKIP_1) | instid1(VALU_DEP_3)
	v_add_f64 v[24:25], v[56:57], v[24:25]
	v_mul_f64 v[56:57], v[231:232], s[20:21]
	v_add_f64 v[52:53], v[239:240], v[52:53]
	s_delay_alu instid0(VALU_DEP_3) | instskip(SKIP_1) | instid1(VALU_DEP_4)
	v_add_f64 v[24:25], v[34:35], v[24:25]
	v_mul_f64 v[34:35], v[148:149], s[16:17]
	v_add_f64 v[56:57], v[128:129], v[56:57]
	s_waitcnt vmcnt(0)
	v_add_f64 v[42:43], v[42:43], -v[0:1]
	scratch_load_b64 v[0:1], off, off offset:368 ; 8-byte Folded Reload
	s_waitcnt vmcnt(0)
	v_add_f64 v[48:49], v[48:49], -v[0:1]
	scratch_load_b64 v[0:1], off, off offset:272 ; 8-byte Folded Reload
	;; [unrolled: 3-line block ×3, first 2 shown]
	v_add_f64 v[26:27], v[50:51], v[26:27]
	v_mul_f64 v[50:51], v[108:109], s[22:23]
	s_delay_alu instid0(VALU_DEP_2) | instskip(SKIP_1) | instid1(VALU_DEP_2)
	v_add_f64 v[26:27], v[48:49], v[26:27]
	v_mul_f64 v[48:49], v[144:145], s[16:17]
	v_add_f64 v[26:27], v[42:43], v[26:27]
	v_mul_f64 v[42:43], v[152:153], s[20:21]
	s_delay_alu instid0(VALU_DEP_2) | instskip(NEXT) | instid1(VALU_DEP_2)
	v_add_f64 v[26:27], v[54:55], v[26:27]
	v_add_f64 v[42:43], v[188:189], v[42:43]
	v_mul_f64 v[54:55], v[201:202], s[8:9]
	s_delay_alu instid0(VALU_DEP_3) | instskip(SKIP_1) | instid1(VALU_DEP_3)
	v_add_f64 v[26:27], v[40:41], v[26:27]
	v_mul_f64 v[40:41], v[150:151], s[20:21]
	v_add_f64 v[54:55], v[54:55], -v[237:238]
	s_delay_alu instid0(VALU_DEP_3) | instskip(NEXT) | instid1(VALU_DEP_3)
	v_add_f64 v[32:33], v[32:33], v[26:27]
	v_add_f64 v[40:41], v[40:41], -v[186:187]
	v_add_f64 v[26:27], v[42:43], v[24:25]
	v_mul_f64 v[42:43], v[172:173], s[0:1]
	s_delay_alu instid0(VALU_DEP_3) | instskip(SKIP_3) | instid1(VALU_DEP_2)
	v_add_f64 v[24:25], v[40:41], v[32:33]
	v_mul_f64 v[32:33], v[176:177], s[0:1]
	v_mul_f64 v[40:41], v[110:111], s[22:23]
	s_waitcnt vmcnt(0)
	v_add_f64 v[32:33], v[0:1], v[32:33]
	scratch_load_b64 v[0:1], off, off offset:360 ; 8-byte Folded Reload
	s_waitcnt vmcnt(0)
	v_add_f64 v[34:35], v[0:1], v[34:35]
	scratch_load_b64 v[0:1], off, off offset:264 ; 8-byte Folded Reload
	s_waitcnt vmcnt(0)
	v_add_f64 v[40:41], v[0:1], v[40:41]
	scratch_load_b64 v[0:1], off, off offset:448 ; 8-byte Folded Reload
	v_add_f64 v[28:29], v[40:41], v[28:29]
	v_mul_f64 v[40:41], v[229:230], s[20:21]
	s_delay_alu instid0(VALU_DEP_2) | instskip(NEXT) | instid1(VALU_DEP_2)
	v_add_f64 v[28:29], v[34:35], v[28:29]
	v_add_f64 v[40:41], v[40:41], -v[126:127]
	v_mul_f64 v[34:35], v[120:121], s[18:19]
	s_delay_alu instid0(VALU_DEP_3) | instskip(SKIP_1) | instid1(VALU_DEP_3)
	v_add_f64 v[28:29], v[32:33], v[28:29]
	v_mul_f64 v[32:33], v[118:119], s[18:19]
	v_add_f64 v[34:35], v[160:161], v[34:35]
	s_delay_alu instid0(VALU_DEP_3) | instskip(NEXT) | instid1(VALU_DEP_3)
	v_add_f64 v[28:29], v[52:53], v[28:29]
	v_add_f64 v[32:33], v[32:33], -v[158:159]
	v_mul_f64 v[52:53], v[203:204], s[22:23]
	s_delay_alu instid0(VALU_DEP_3) | instskip(SKIP_1) | instid1(VALU_DEP_3)
	v_add_f64 v[28:29], v[56:57], v[28:29]
	v_mul_f64 v[56:57], v[231:232], s[10:11]
	v_add_f64 v[52:53], v[235:236], v[52:53]
	s_delay_alu instid0(VALU_DEP_3) | instskip(SKIP_1) | instid1(VALU_DEP_4)
	v_add_f64 v[28:29], v[34:35], v[28:29]
	v_mul_f64 v[34:35], v[148:149], s[6:7]
	v_add_f64 v[56:57], v[124:125], v[56:57]
	s_waitcnt vmcnt(0)
	v_add_f64 v[42:43], v[42:43], -v[0:1]
	scratch_load_b64 v[0:1], off, off offset:352 ; 8-byte Folded Reload
	s_waitcnt vmcnt(0)
	v_add_f64 v[48:49], v[48:49], -v[0:1]
	scratch_load_b64 v[0:1], off, off offset:256 ; 8-byte Folded Reload
	;; [unrolled: 3-line block ×3, first 2 shown]
	v_add_f64 v[30:31], v[50:51], v[30:31]
	v_mul_f64 v[50:51], v[108:109], s[20:21]
	s_delay_alu instid0(VALU_DEP_2) | instskip(SKIP_1) | instid1(VALU_DEP_2)
	v_add_f64 v[30:31], v[48:49], v[30:31]
	v_mul_f64 v[48:49], v[144:145], s[6:7]
	v_add_f64 v[30:31], v[42:43], v[30:31]
	v_mul_f64 v[42:43], v[152:153], s[6:7]
	s_delay_alu instid0(VALU_DEP_2) | instskip(NEXT) | instid1(VALU_DEP_2)
	v_add_f64 v[30:31], v[54:55], v[30:31]
	v_add_f64 v[42:43], v[192:193], v[42:43]
	v_mul_f64 v[54:55], v[201:202], s[22:23]
	s_delay_alu instid0(VALU_DEP_3) | instskip(SKIP_1) | instid1(VALU_DEP_3)
	v_add_f64 v[30:31], v[40:41], v[30:31]
	v_mul_f64 v[40:41], v[150:151], s[6:7]
	v_add_f64 v[54:55], v[54:55], -v[233:234]
	s_delay_alu instid0(VALU_DEP_3) | instskip(NEXT) | instid1(VALU_DEP_3)
	v_add_f64 v[32:33], v[32:33], v[30:31]
	v_add_f64 v[40:41], v[40:41], -v[190:191]
	v_add_f64 v[30:31], v[42:43], v[28:29]
	v_mul_f64 v[42:43], v[172:173], s[8:9]
	s_delay_alu instid0(VALU_DEP_3) | instskip(SKIP_3) | instid1(VALU_DEP_2)
	v_add_f64 v[28:29], v[40:41], v[32:33]
	v_mul_f64 v[32:33], v[176:177], s[8:9]
	v_mul_f64 v[40:41], v[110:111], s[20:21]
	s_waitcnt vmcnt(0)
	v_add_f64 v[32:33], v[0:1], v[32:33]
	scratch_load_b64 v[0:1], off, off offset:344 ; 8-byte Folded Reload
	s_waitcnt vmcnt(0)
	v_add_f64 v[34:35], v[0:1], v[34:35]
	scratch_load_b64 v[0:1], off, off offset:248 ; 8-byte Folded Reload
	;; [unrolled: 3-line block ×3, first 2 shown]
	v_add_f64 v[40:41], v[40:41], v[44:45]
	s_delay_alu instid0(VALU_DEP_1) | instskip(NEXT) | instid1(VALU_DEP_1)
	v_add_f64 v[34:35], v[34:35], v[40:41]
	v_add_f64 v[32:33], v[32:33], v[34:35]
	s_delay_alu instid0(VALU_DEP_1) | instskip(SKIP_1) | instid1(VALU_DEP_2)
	v_add_f64 v[32:33], v[52:53], v[32:33]
	v_mul_f64 v[52:53], v[203:204], s[16:17]
	v_add_f64 v[32:33], v[56:57], v[32:33]
	s_delay_alu instid0(VALU_DEP_2) | instskip(SKIP_1) | instid1(VALU_DEP_1)
	v_add_f64 v[52:53], v[227:228], v[52:53]
	v_mul_f64 v[56:57], v[231:232], s[18:19]
	v_add_f64 v[56:57], v[116:117], v[56:57]
	s_waitcnt vmcnt(0)
	v_add_f64 v[42:43], v[42:43], -v[0:1]
	scratch_load_b64 v[0:1], off, off offset:336 ; 8-byte Folded Reload
	s_waitcnt vmcnt(0)
	v_add_f64 v[48:49], v[48:49], -v[0:1]
	scratch_load_b64 v[0:1], off, off offset:240 ; 8-byte Folded Reload
	;; [unrolled: 3-line block ×3, first 2 shown]
	v_add_f64 v[44:45], v[50:51], v[46:47]
	v_mul_f64 v[46:47], v[229:230], s[10:11]
	v_mul_f64 v[50:51], v[172:173], s[10:11]
	s_delay_alu instid0(VALU_DEP_3) | instskip(NEXT) | instid1(VALU_DEP_3)
	v_add_f64 v[40:41], v[48:49], v[44:45]
	v_add_f64 v[46:47], v[46:47], -v[122:123]
	v_mul_f64 v[44:45], v[120:121], s[0:1]
	v_mul_f64 v[48:49], v[144:145], s[8:9]
	s_delay_alu instid0(VALU_DEP_4) | instskip(SKIP_1) | instid1(VALU_DEP_4)
	v_add_f64 v[34:35], v[42:43], v[40:41]
	v_mul_f64 v[40:41], v[118:119], s[0:1]
	v_add_f64 v[44:45], v[156:157], v[44:45]
	v_mul_f64 v[42:43], v[152:153], s[18:19]
	s_delay_alu instid0(VALU_DEP_4) | instskip(NEXT) | instid1(VALU_DEP_4)
	v_add_f64 v[34:35], v[54:55], v[34:35]
	v_add_f64 v[40:41], v[40:41], -v[154:155]
	s_delay_alu instid0(VALU_DEP_4) | instskip(NEXT) | instid1(VALU_DEP_4)
	v_add_f64 v[32:33], v[44:45], v[32:33]
	v_add_f64 v[42:43], v[196:197], v[42:43]
	v_mul_f64 v[44:45], v[110:111], s[6:7]
	v_mul_f64 v[54:55], v[201:202], s[16:17]
	v_add_f64 v[34:35], v[46:47], v[34:35]
	v_mul_f64 v[46:47], v[150:151], s[18:19]
	s_delay_alu instid0(VALU_DEP_3) | instskip(NEXT) | instid1(VALU_DEP_3)
	v_add_f64 v[54:55], v[54:55], -v[223:224]
	v_add_f64 v[40:41], v[40:41], v[34:35]
	s_delay_alu instid0(VALU_DEP_3) | instskip(SKIP_2) | instid1(VALU_DEP_3)
	v_add_f64 v[46:47], v[46:47], -v[194:195]
	v_add_f64 v[34:35], v[42:43], v[32:33]
	v_mul_f64 v[42:43], v[148:149], s[8:9]
	v_add_f64 v[32:33], v[46:47], v[40:41]
	v_mul_f64 v[40:41], v[176:177], s[10:11]
	v_mul_f64 v[46:47], v[108:109], s[6:7]
	s_waitcnt vmcnt(0)
	s_delay_alu instid0(VALU_DEP_2)
	v_add_f64 v[40:41], v[0:1], v[40:41]
	scratch_load_b64 v[0:1], off, off offset:328 ; 8-byte Folded Reload
	s_waitcnt vmcnt(0)
	v_add_f64 v[42:43], v[0:1], v[42:43]
	scratch_load_b64 v[0:1], off, off offset:232 ; 8-byte Folded Reload
	s_waitcnt vmcnt(0)
	v_add_f64 v[44:45], v[0:1], v[44:45]
	scratch_load_b64 v[0:1], off, off offset:224 ; 8-byte Folded Reload
	v_add_f64 v[36:37], v[44:45], v[36:37]
	v_mul_f64 v[44:45], v[229:230], s[18:19]
	s_delay_alu instid0(VALU_DEP_2) | instskip(NEXT) | instid1(VALU_DEP_2)
	v_add_f64 v[36:37], v[42:43], v[36:37]
	v_add_f64 v[44:45], v[44:45], -v[253:254]
	v_mul_f64 v[42:43], v[120:121], s[20:21]
	s_delay_alu instid0(VALU_DEP_3) | instskip(SKIP_1) | instid1(VALU_DEP_3)
	v_add_f64 v[36:37], v[40:41], v[36:37]
	v_mul_f64 v[40:41], v[118:119], s[20:21]
	v_add_f64 v[42:43], v[146:147], v[42:43]
	s_delay_alu instid0(VALU_DEP_3) | instskip(NEXT) | instid1(VALU_DEP_3)
	v_add_f64 v[36:37], v[52:53], v[36:37]
	v_add_f64 v[40:41], v[40:41], -v[140:141]
	s_delay_alu instid0(VALU_DEP_2) | instskip(NEXT) | instid1(VALU_DEP_1)
	v_add_f64 v[36:37], v[56:57], v[36:37]
	v_add_f64 v[36:37], v[42:43], v[36:37]
	s_waitcnt vmcnt(0)
	v_add_f64 v[46:47], v[46:47], -v[0:1]
	scratch_load_b64 v[0:1], off, off offset:320 ; 8-byte Folded Reload
	v_add_f64 v[38:39], v[46:47], v[38:39]
	v_mul_f64 v[46:47], v[152:153], s[22:23]
	s_delay_alu instid0(VALU_DEP_1)
	v_add_f64 v[46:47], v[180:181], v[46:47]
	s_waitcnt vmcnt(0)
	v_add_f64 v[48:49], v[48:49], -v[0:1]
	scratch_load_b64 v[0:1], off, off offset:416 ; 8-byte Folded Reload
	v_add_f64 v[38:39], v[48:49], v[38:39]
	s_waitcnt vmcnt(0)
	v_add_f64 v[50:51], v[50:51], -v[0:1]
	v_mul_lo_u16 v0, v5, 17
	s_delay_alu instid0(VALU_DEP_1) | instskip(NEXT) | instid1(VALU_DEP_1)
	v_and_b32_e32 v0, 0xffff, v0
	v_lshlrev_b32_e32 v0, 4, v0
	s_delay_alu instid0(VALU_DEP_4) | instskip(NEXT) | instid1(VALU_DEP_1)
	v_add_f64 v[38:39], v[50:51], v[38:39]
	v_add_f64 v[38:39], v[54:55], v[38:39]
	s_delay_alu instid0(VALU_DEP_1) | instskip(SKIP_1) | instid1(VALU_DEP_2)
	v_add_f64 v[38:39], v[44:45], v[38:39]
	v_mul_f64 v[44:45], v[150:151], s[22:23]
	v_add_f64 v[40:41], v[40:41], v[38:39]
	s_delay_alu instid0(VALU_DEP_2) | instskip(SKIP_1) | instid1(VALU_DEP_2)
	v_add_f64 v[44:45], v[44:45], -v[178:179]
	v_add_f64 v[38:39], v[46:47], v[36:37]
	v_add_f64 v[36:37], v[44:45], v[40:41]
	ds_store_b128 v0, v[20:23] offset:32
	ds_store_b128 v0, v[24:27] offset:48
	;; [unrolled: 1-line block ×6, first 2 shown]
	ds_store_b128 v0, v[16:19]
	ds_store_b128 v0, v[100:103] offset:128
	ds_store_b128 v0, v[104:107] offset:144
	;; [unrolled: 1-line block ×6, first 2 shown]
	scratch_load_b128 v[1:4], off, off offset:44 ; 16-byte Folded Reload
	s_waitcnt vmcnt(0)
	ds_store_b128 v0, v[1:4] offset:224
	scratch_load_b128 v[1:4], off, off offset:28 ; 16-byte Folded Reload
	s_waitcnt vmcnt(0)
	ds_store_b128 v0, v[1:4] offset:240
	ds_store_b128 v0, v[84:87] offset:112
	scratch_load_b128 v[1:4], off, off offset:12 ; 16-byte Folded Reload
	s_waitcnt vmcnt(0)
	ds_store_b128 v0, v[1:4] offset:256
.LBB0_7:
	s_or_b32 exec_lo, exec_lo, s24
	s_waitcnt lgkmcnt(0)
	s_waitcnt_vscnt null, 0x0
	s_barrier
	buffer_gl0_inv
	ds_load_b128 v[60:63], v255
	ds_load_b128 v[108:111], v255 offset:2992
	ds_load_b128 v[76:79], v255 offset:5984
	;; [unrolled: 1-line block ×6, first 2 shown]
	v_cmp_gt_u16_e64 s0, 0x44, v5
	s_delay_alu instid0(VALU_DEP_1)
	s_and_saveexec_b32 s1, s0
	s_cbranch_execz .LBB0_9
; %bb.8:
	ds_load_b128 v[84:87], v255 offset:1904
	ds_load_b128 v[100:103], v255 offset:4896
	;; [unrolled: 1-line block ×7, first 2 shown]
.LBB0_9:
	s_or_b32 exec_lo, exec_lo, s1
	v_and_b32_e32 v0, 0xff, v5
	v_add_nc_u16 v1, v5, 0x77
	s_mov_b32 s6, 0x37e14327
	s_mov_b32 s8, 0x36b3c0b5
	;; [unrolled: 1-line block ×3, first 2 shown]
	v_mul_lo_u16 v0, 0xf1, v0
	v_and_b32_e32 v2, 0xff, v1
	s_mov_b32 s16, 0x429ad128
	s_mov_b32 s7, 0x3fe948f6
	;; [unrolled: 1-line block ×3, first 2 shown]
	v_lshrrev_b16 v0, 12, v0
	v_mul_lo_u16 v2, 0xf1, v2
	s_mov_b32 s11, 0xbfe11646
	s_mov_b32 s17, 0x3febfeb5
	;; [unrolled: 1-line block ×3, first 2 shown]
	v_mul_lo_u16 v3, v0, 17
	v_lshrrev_b16 v116, 12, v2
	s_mov_b32 s19, 0xbfe77f67
	s_mov_b32 s21, 0x3fd5d0dc
	;; [unrolled: 1-line block ×3, first 2 shown]
	v_sub_nc_u16 v3, v5, v3
	s_mov_b32 s22, s20
	v_and_b32_e32 v0, 0xffff, v0
	s_delay_alu instid0(VALU_DEP_2) | instskip(SKIP_1) | instid1(VALU_DEP_3)
	v_and_b32_e32 v2, 0xff, v3
	v_mul_lo_u16 v3, v116, 17
	v_mul_u32_u24_e32 v0, 0x77, v0
	s_delay_alu instid0(VALU_DEP_3) | instskip(NEXT) | instid1(VALU_DEP_3)
	v_mul_u32_u24_e32 v4, 6, v2
	v_sub_nc_u16 v1, v1, v3
	s_delay_alu instid0(VALU_DEP_3) | instskip(SKIP_1) | instid1(VALU_DEP_4)
	v_add_lshl_u32 v184, v0, v2, 4
	v_and_b32_e32 v0, 0xffff, v116
	v_lshlrev_b32_e32 v3, 4, v4
	s_delay_alu instid0(VALU_DEP_4)
	v_and_b32_e32 v1, 0xff, v1
	s_clause 0x1
	global_load_b128 v[48:51], v3, s[2:3]
	global_load_b128 v[34:37], v3, s[2:3] offset:16
	scratch_store_b32 off, v1, off offset:60 ; 4-byte Folded Spill
	v_mul_u32_u24_e32 v1, 6, v1
	s_clause 0x1
	global_load_b128 v[44:47], v3, s[2:3] offset:80
	global_load_b128 v[30:33], v3, s[2:3] offset:64
	v_lshlrev_b32_e32 v1, 4, v1
	s_clause 0x7
	global_load_b128 v[10:13], v1, s[2:3]
	global_load_b128 v[6:9], v1, s[2:3] offset:16
	global_load_b128 v[14:17], v1, s[2:3] offset:80
	;; [unrolled: 1-line block ×7, first 2 shown]
	scratch_store_b32 off, v0, off offset:100 ; 4-byte Folded Spill
	s_waitcnt vmcnt(11) lgkmcnt(5)
	v_mul_f64 v[117:118], v[110:111], v[50:51]
	v_mul_f64 v[119:120], v[108:109], v[50:51]
	s_waitcnt vmcnt(10) lgkmcnt(4)
	v_mul_f64 v[121:122], v[78:79], v[36:37]
	v_mul_f64 v[123:124], v[76:77], v[36:37]
	;; [unrolled: 3-line block ×3, first 2 shown]
	s_waitcnt vmcnt(8)
	v_mul_f64 v[129:130], v[74:75], v[32:33]
	v_mul_f64 v[131:132], v[72:73], v[32:33]
	s_waitcnt vmcnt(7)
	v_mul_f64 v[133:134], v[102:103], v[12:13]
	v_mul_f64 v[135:136], v[100:101], v[12:13]
	;; [unrolled: 3-line block ×7, first 2 shown]
	s_clause 0x5
	scratch_store_b128 off, v[34:37], off offset:84
	scratch_store_b128 off, v[30:33], off offset:68
	scratch_store_b128 off, v[10:13], off offset:128
	scratch_store_b128 off, v[14:17], off offset:144
	scratch_store_b128 off, v[6:9], off offset:112
	scratch_store_b128 off, v[26:29], off offset:192
	s_waitcnt vmcnt(1)
	scratch_store_b128 off, v[22:25], off offset:176 ; 16-byte Folded Spill
	s_waitcnt vmcnt(0)
	scratch_store_b128 off, v[18:21], off offset:160 ; 16-byte Folded Spill
	v_fma_f64 v[108:109], v[108:109], v[48:49], -v[117:118]
	v_fma_f64 v[110:111], v[110:111], v[48:49], v[119:120]
	v_fma_f64 v[76:77], v[76:77], v[34:35], -v[121:122]
	v_fma_f64 v[78:79], v[78:79], v[34:35], v[123:124]
	;; [unrolled: 2-line block ×4, first 2 shown]
	v_mul_f64 v[117:118], v[98:99], v[24:25]
	v_mul_f64 v[119:120], v[96:97], v[24:25]
	;; [unrolled: 1-line block ×4, first 2 shown]
	v_fma_f64 v[100:101], v[100:101], v[10:11], -v[133:134]
	v_fma_f64 v[102:103], v[102:103], v[10:11], v[135:136]
	v_fma_f64 v[104:105], v[104:105], v[6:7], -v[137:138]
	v_fma_f64 v[106:107], v[106:107], v[6:7], v[139:140]
	;; [unrolled: 2-line block ×6, first 2 shown]
	v_add_f64 v[125:126], v[108:109], v[112:113]
	v_add_f64 v[127:128], v[110:111], v[114:115]
	;; [unrolled: 1-line block ×4, first 2 shown]
	v_fma_f64 v[96:97], v[96:97], v[22:23], -v[117:118]
	v_fma_f64 v[98:99], v[98:99], v[22:23], v[119:120]
	v_fma_f64 v[92:93], v[92:93], v[18:19], -v[121:122]
	v_fma_f64 v[94:95], v[94:95], v[18:19], v[123:124]
	v_add_f64 v[72:73], v[76:77], -v[72:73]
	v_add_f64 v[74:75], v[78:79], -v[74:75]
	v_add_f64 v[117:118], v[100:101], v[80:81]
	v_add_f64 v[119:120], v[102:103], v[82:83]
	;; [unrolled: 1-line block ×4, first 2 shown]
	v_add_f64 v[88:89], v[104:105], -v[88:89]
	v_add_f64 v[90:91], v[106:107], -v[90:91]
	v_add_f64 v[133:134], v[68:69], v[64:65]
	v_add_f64 v[135:136], v[70:71], v[66:67]
	v_add_f64 v[64:65], v[64:65], -v[68:69]
	v_add_f64 v[66:67], v[66:67], -v[70:71]
	;; [unrolled: 1-line block ×6, first 2 shown]
	v_add_f64 v[76:77], v[129:130], v[125:126]
	v_add_f64 v[78:79], v[131:132], v[127:128]
	;; [unrolled: 1-line block ×4, first 2 shown]
	v_add_f64 v[92:93], v[92:93], -v[96:97]
	v_add_f64 v[94:95], v[94:95], -v[98:99]
	v_add_f64 v[96:97], v[121:122], v[117:118]
	v_add_f64 v[98:99], v[123:124], v[119:120]
	v_add_f64 v[100:101], v[125:126], -v[133:134]
	v_add_f64 v[102:103], v[127:128], -v[135:136]
	;; [unrolled: 1-line block ×12, first 2 shown]
	v_add_f64 v[72:73], v[64:65], v[72:73]
	v_add_f64 v[74:75], v[66:67], v[74:75]
	v_add_f64 v[64:65], v[68:69], -v[64:65]
	v_add_f64 v[66:67], v[70:71], -v[66:67]
	v_add_f64 v[76:77], v[133:134], v[76:77]
	v_add_f64 v[78:79], v[135:136], v[78:79]
	v_add_f64 v[133:134], v[104:105], -v[121:122]
	v_add_f64 v[135:136], v[106:107], -v[123:124]
	;; [unrolled: 1-line block ×4, first 2 shown]
	v_add_f64 v[129:130], v[92:93], v[88:89]
	v_add_f64 v[131:132], v[94:95], v[90:91]
	v_add_f64 v[92:93], v[80:81], -v[92:93]
	v_add_f64 v[94:95], v[82:83], -v[94:95]
	v_add_f64 v[96:97], v[104:105], v[96:97]
	v_add_f64 v[98:99], v[106:107], v[98:99]
	v_add_f64 v[104:105], v[117:118], -v[104:105]
	v_add_f64 v[106:107], v[119:120], -v[106:107]
	v_mul_f64 v[100:101], v[100:101], s[6:7]
	v_mul_f64 v[102:103], v[102:103], s[6:7]
	;; [unrolled: 1-line block ×6, first 2 shown]
	v_add_f64 v[117:118], v[121:122], -v[117:118]
	v_add_f64 v[119:120], v[123:124], -v[119:120]
	v_mul_f64 v[121:122], v[137:138], s[16:17]
	v_mul_f64 v[123:124], v[139:140], s[16:17]
	;; [unrolled: 1-line block ×4, first 2 shown]
	v_add_f64 v[68:69], v[72:73], v[68:69]
	v_add_f64 v[70:71], v[74:75], v[70:71]
	;; [unrolled: 1-line block ×4, first 2 shown]
	v_mul_f64 v[153:154], v[133:134], s[8:9]
	v_mul_f64 v[155:156], v[135:136], s[8:9]
	;; [unrolled: 1-line block ×4, first 2 shown]
	s_mov_b32 s10, 0xaaaaaaaa
	s_mov_b32 s11, 0xbff2aaaa
	v_add_f64 v[72:73], v[129:130], v[80:81]
	v_add_f64 v[74:75], v[131:132], v[82:83]
	;; [unrolled: 1-line block ×4, first 2 shown]
	v_mul_f64 v[84:85], v[104:105], s[6:7]
	v_mul_f64 v[86:87], v[106:107], s[6:7]
	s_mov_b32 s6, 0x5476071b
	s_mov_b32 s7, 0x3fe77f67
	;; [unrolled: 1-line block ×3, first 2 shown]
	v_fma_f64 v[80:81], v[108:109], s[8:9], v[100:101]
	v_fma_f64 v[82:83], v[110:111], s[8:9], v[102:103]
	v_fma_f64 v[104:105], v[125:126], s[6:7], -v[149:150]
	v_fma_f64 v[106:107], v[127:128], s[6:7], -v[151:152]
	v_fma_f64 v[108:109], v[64:65], s[20:21], v[112:113]
	v_fma_f64 v[110:111], v[66:67], s[20:21], v[114:115]
	v_fma_f64 v[112:113], v[137:138], s[16:17], -v[112:113]
	v_fma_f64 v[114:115], v[139:140], s[16:17], -v[114:115]
	;; [unrolled: 1-line block ×6, first 2 shown]
	v_fma_f64 v[76:77], v[76:77], s[10:11], v[88:89]
	v_fma_f64 v[78:79], v[78:79], s[10:11], v[90:91]
	v_fma_f64 v[121:122], v[117:118], s[6:7], -v[153:154]
	v_fma_f64 v[123:124], v[119:120], s[6:7], -v[155:156]
	v_fma_f64 v[125:126], v[92:93], s[20:21], v[141:142]
	v_fma_f64 v[127:128], v[94:95], s[20:21], v[143:144]
	v_fma_f64 v[129:130], v[145:146], s[16:17], -v[141:142]
	v_fma_f64 v[131:132], v[147:148], s[16:17], -v[143:144]
	;; [unrolled: 1-line block ×4, first 2 shown]
	v_fma_f64 v[96:97], v[96:97], s[10:11], v[60:61]
	v_fma_f64 v[98:99], v[98:99], s[10:11], v[62:63]
	v_fma_f64 v[117:118], v[117:118], s[18:19], -v[84:85]
	v_fma_f64 v[119:120], v[119:120], s[18:19], -v[86:87]
	v_fma_f64 v[133:134], v[133:134], s[8:9], v[84:85]
	v_fma_f64 v[135:136], v[135:136], s[8:9], v[86:87]
	s_mov_b32 s6, 0x37c3f68c
	s_mov_b32 s7, 0x3fdc38aa
	s_delay_alu instid0(SALU_CYCLE_1)
	v_fma_f64 v[108:109], v[68:69], s[6:7], v[108:109]
	v_fma_f64 v[110:111], v[70:71], s[6:7], v[110:111]
	;; [unrolled: 1-line block ×6, first 2 shown]
	v_add_f64 v[145:146], v[80:81], v[76:77]
	v_add_f64 v[147:148], v[82:83], v[78:79]
	;; [unrolled: 1-line block ×6, first 2 shown]
	v_fma_f64 v[68:69], v[72:73], s[6:7], v[125:126]
	v_fma_f64 v[64:65], v[74:75], s[6:7], v[127:128]
	;; [unrolled: 1-line block ×6, first 2 shown]
	v_add_f64 v[70:71], v[121:122], v[96:97]
	v_add_f64 v[86:87], v[123:124], v[98:99]
	;; [unrolled: 1-line block ×6, first 2 shown]
	s_load_b128 s[4:7], s[4:5], 0x0
	s_waitcnt lgkmcnt(0)
	s_waitcnt_vscnt null, 0x0
	s_barrier
	buffer_gl0_inv
	v_add_f64 v[92:93], v[110:111], v[145:146]
	v_add_f64 v[94:95], v[147:148], -v[108:109]
	v_add_f64 v[96:97], v[143:144], v[100:101]
	v_add_f64 v[98:99], v[102:103], -v[141:142]
	v_add_f64 v[112:113], v[104:105], -v[139:140]
	v_add_f64 v[114:115], v[137:138], v[106:107]
	v_add_f64 v[117:118], v[139:140], v[104:105]
	v_add_f64 v[119:120], v[106:107], -v[137:138]
	v_add_f64 v[121:122], v[100:101], -v[143:144]
	v_add_f64 v[123:124], v[141:142], v[102:103]
	v_add_f64 v[125:126], v[145:146], -v[110:111]
	v_add_f64 v[127:128], v[108:109], v[147:148]
	v_add_f64 v[108:109], v[66:67], v[70:71]
	v_add_f64 v[110:111], v[86:87], -v[82:83]
	v_add_f64 v[104:105], v[74:75], -v[72:73]
	v_add_f64 v[106:107], v[78:79], v[84:85]
	v_add_f64 v[100:101], v[76:77], -v[64:65]
	v_add_f64 v[102:103], v[68:69], v[80:81]
	ds_store_b128 v184, v[88:91]
	ds_store_b128 v184, v[92:95] offset:272
	ds_store_b128 v184, v[96:99] offset:544
	;; [unrolled: 1-line block ×6, first 2 shown]
	s_and_saveexec_b32 s1, s0
	s_cbranch_execz .LBB0_11
; %bb.10:
	s_clause 0x1
	scratch_load_b32 v0, off, off offset:100
	scratch_load_b32 v1, off, off offset:60
	v_add_f64 v[82:83], v[82:83], v[86:87]
	v_add_f64 v[78:79], v[84:85], -v[78:79]
	v_add_f64 v[86:87], v[80:81], -v[68:69]
	v_add_f64 v[84:85], v[64:65], v[76:77]
	v_add_f64 v[76:77], v[72:73], v[74:75]
	v_add_f64 v[80:81], v[70:71], -v[66:67]
	s_waitcnt vmcnt(1)
	v_mul_u32_u24_e32 v0, 0x77, v0
	s_waitcnt vmcnt(0)
	s_delay_alu instid0(VALU_DEP_1)
	v_add_lshl_u32 v0, v0, v1, 4
	ds_store_b128 v0, v[108:111] offset:1088
	ds_store_b128 v0, v[104:107] offset:1360
	ds_store_b128 v0, v[60:63]
	ds_store_b128 v0, v[84:87] offset:272
	ds_store_b128 v0, v[76:79] offset:544
	ds_store_b128 v0, v[80:83] offset:816
	ds_store_b128 v0, v[100:103] offset:1632
.LBB0_11:
	s_or_b32 exec_lo, exec_lo, s1
	v_mad_u64_u32 v[92:93], null, 0xa0, v5, s[2:3]
	s_waitcnt lgkmcnt(0)
	s_barrier
	buffer_gl0_inv
	s_mov_b32 s26, 0xf8bb580b
	s_mov_b32 s20, 0x43842ef
	;; [unrolled: 1-line block ×3, first 2 shown]
	s_clause 0x3
	global_load_b128 v[68:71], v[92:93], off offset:1632
	global_load_b128 v[60:63], v[92:93], off offset:1776
	;; [unrolled: 1-line block ×4, first 2 shown]
	ds_load_b128 v[76:79], v255 offset:1904
	ds_load_b128 v[80:83], v255 offset:19040
	ds_load_b128 v[112:115], v255
	ds_load_b128 v[84:87], v255 offset:3808
	s_mov_b32 s28, 0xfd768dbf
	s_mov_b32 s27, 0xbfe14ced
	;; [unrolled: 1-line block ×23, first 2 shown]
	s_waitcnt vmcnt(3) lgkmcnt(3)
	v_mul_f64 v[88:89], v[78:79], v[70:71]
	v_mul_f64 v[90:91], v[76:77], v[70:71]
	s_waitcnt vmcnt(2) lgkmcnt(2)
	v_mul_f64 v[94:95], v[80:81], v[62:63]
	v_mul_f64 v[96:97], v[82:83], v[62:63]
	s_delay_alu instid0(VALU_DEP_4) | instskip(NEXT) | instid1(VALU_DEP_4)
	v_fma_f64 v[124:125], v[76:77], v[68:69], -v[88:89]
	v_fma_f64 v[126:127], v[78:79], v[68:69], v[90:91]
	ds_load_b128 v[88:91], v255 offset:5712
	s_waitcnt vmcnt(1) lgkmcnt(1)
	v_mul_f64 v[76:77], v[86:87], v[74:75]
	v_mul_f64 v[78:79], v[84:85], v[74:75]
	v_fma_f64 v[156:157], v[82:83], v[60:61], v[94:95]
	v_fma_f64 v[158:159], v[80:81], v[60:61], -v[96:97]
	v_add_f64 v[199:200], v[112:113], v[124:125]
	v_add_f64 v[201:202], v[114:115], v[126:127]
	v_fma_f64 v[160:161], v[84:85], v[72:73], -v[76:77]
	v_fma_f64 v[162:163], v[86:87], v[72:73], v[78:79]
	ds_load_b128 v[76:79], v255 offset:17136
	ds_load_b128 v[94:97], v255 offset:15232
	v_add_f64 v[130:131], v[124:125], v[158:159]
	v_add_f64 v[150:151], v[126:127], v[156:157]
	s_waitcnt vmcnt(0) lgkmcnt(1)
	v_mul_f64 v[80:81], v[76:77], v[66:67]
	s_delay_alu instid0(VALU_DEP_1) | instskip(SKIP_1) | instid1(VALU_DEP_2)
	v_fma_f64 v[164:165], v[78:79], v[64:65], v[80:81]
	v_mul_f64 v[78:79], v[78:79], v[66:67]
	v_add_f64 v[213:214], v[162:163], v[164:165]
	s_delay_alu instid0(VALU_DEP_2)
	v_fma_f64 v[166:167], v[76:77], v[64:65], -v[78:79]
	s_clause 0x1
	global_load_b128 v[80:83], v[92:93], off offset:1664
	global_load_b128 v[76:79], v[92:93], off offset:1680
	v_add_f64 v[209:210], v[160:161], v[166:167]
	s_waitcnt vmcnt(1)
	v_mul_f64 v[84:85], v[90:91], v[82:83]
	s_delay_alu instid0(VALU_DEP_1) | instskip(SKIP_1) | instid1(VALU_DEP_1)
	v_fma_f64 v[168:169], v[88:89], v[80:81], -v[84:85]
	v_mul_f64 v[84:85], v[88:89], v[82:83]
	v_fma_f64 v[170:171], v[90:91], v[80:81], v[84:85]
	s_clause 0x1
	global_load_b128 v[88:91], v[92:93], off offset:1744
	global_load_b128 v[84:87], v[92:93], off offset:1728
	s_waitcnt vmcnt(1) lgkmcnt(0)
	v_mul_f64 v[98:99], v[94:95], v[90:91]
	s_delay_alu instid0(VALU_DEP_1) | instskip(SKIP_1) | instid1(VALU_DEP_2)
	v_fma_f64 v[172:173], v[96:97], v[88:89], v[98:99]
	v_mul_f64 v[96:97], v[96:97], v[90:91]
	v_add_f64 v[223:224], v[170:171], v[172:173]
	s_delay_alu instid0(VALU_DEP_2)
	v_fma_f64 v[174:175], v[94:95], v[88:89], -v[96:97]
	ds_load_b128 v[94:97], v255 offset:7616
	ds_load_b128 v[116:119], v255 offset:9520
	s_waitcnt lgkmcnt(1)
	v_mul_f64 v[98:99], v[96:97], v[78:79]
	v_add_f64 v[217:218], v[168:169], v[174:175]
	v_add_f64 v[221:222], v[168:169], -v[174:175]
	s_delay_alu instid0(VALU_DEP_3) | instskip(SKIP_1) | instid1(VALU_DEP_3)
	v_fma_f64 v[176:177], v[94:95], v[76:77], -v[98:99]
	v_mul_f64 v[94:95], v[94:95], v[78:79]
	v_mul_f64 v[225:226], v[221:222], s[20:21]
	;; [unrolled: 1-line block ×4, first 2 shown]
	s_delay_alu instid0(VALU_DEP_4)
	v_fma_f64 v[178:179], v[96:97], v[76:77], v[94:95]
	ds_load_b128 v[94:97], v255 offset:13328
	ds_load_b128 v[120:123], v255 offset:11424
	v_fma_f64 v[18:19], v[223:224], s[2:3], v[16:17]
	s_waitcnt vmcnt(0) lgkmcnt(1)
	v_mul_f64 v[98:99], v[96:97], v[86:87]
	v_fma_f64 v[38:39], v[223:224], s[18:19], v[36:37]
	s_delay_alu instid0(VALU_DEP_2) | instskip(SKIP_1) | instid1(VALU_DEP_2)
	v_fma_f64 v[180:181], v[94:95], v[84:85], -v[98:99]
	v_mul_f64 v[94:95], v[94:95], v[86:87]
	v_add_f64 v[229:230], v[176:177], v[180:181]
	s_delay_alu instid0(VALU_DEP_2)
	v_fma_f64 v[182:183], v[96:97], v[84:85], v[94:95]
	s_clause 0x1
	global_load_b128 v[96:99], v[92:93], off offset:1696
	global_load_b128 v[92:95], v[92:93], off offset:1712
	v_add_f64 v[233:234], v[176:177], -v[180:181]
	v_add_f64 v[227:228], v[178:179], -v[182:183]
	v_add_f64 v[235:236], v[178:179], v[182:183]
	s_delay_alu instid0(VALU_DEP_3) | instskip(SKIP_1) | instid1(VALU_DEP_4)
	v_mul_f64 v[237:238], v[233:234], s[24:25]
	v_mul_f64 v[40:41], v[233:234], s[28:29]
	;; [unrolled: 1-line block ×5, first 2 shown]
	s_delay_alu instid0(VALU_DEP_4) | instskip(NEXT) | instid1(VALU_DEP_3)
	v_fma_f64 v[42:43], v[235:236], s[2:3], v[40:41]
	v_fma_f64 v[22:23], v[229:230], s[16:17], -v[20:21]
	s_delay_alu instid0(VALU_DEP_3) | instskip(SKIP_3) | instid1(VALU_DEP_1)
	v_fma_f64 v[2:3], v[229:230], s[18:19], -v[0:1]
	v_fma_f64 v[0:1], v[229:230], s[18:19], v[0:1]
	s_waitcnt vmcnt(1)
	v_mul_f64 v[128:129], v[118:119], v[98:99]
	v_fma_f64 v[185:186], v[116:117], v[96:97], -v[128:129]
	v_mul_f64 v[116:117], v[116:117], v[98:99]
	s_delay_alu instid0(VALU_DEP_1) | instskip(SKIP_2) | instid1(VALU_DEP_1)
	v_fma_f64 v[187:188], v[118:119], v[96:97], v[116:117]
	s_waitcnt vmcnt(0) lgkmcnt(0)
	v_mul_f64 v[116:117], v[122:123], v[94:95]
	v_fma_f64 v[189:190], v[120:121], v[92:93], -v[116:117]
	v_mul_f64 v[116:117], v[120:121], v[94:95]
	s_delay_alu instid0(VALU_DEP_2) | instskip(NEXT) | instid1(VALU_DEP_2)
	v_add_f64 v[241:242], v[185:186], v[189:190]
	v_fma_f64 v[191:192], v[122:123], v[92:93], v[116:117]
	v_add_f64 v[116:117], v[126:127], -v[156:157]
	v_add_f64 v[245:246], v[185:186], -v[189:190]
	s_delay_alu instid0(VALU_DEP_3) | instskip(NEXT) | instid1(VALU_DEP_3)
	v_add_f64 v[239:240], v[187:188], -v[191:192]
	v_mul_f64 v[118:119], v[116:117], s[26:27]
	v_mul_f64 v[120:121], v[116:117], s[22:23]
	;; [unrolled: 1-line block ×5, first 2 shown]
	v_add_f64 v[247:248], v[187:188], v[191:192]
	v_mul_f64 v[249:250], v[245:246], s[28:29]
	v_mul_f64 v[243:244], v[239:240], s[28:29]
	v_fma_f64 v[132:133], v[130:131], s[18:19], -v[118:119]
	v_fma_f64 v[118:119], v[130:131], s[18:19], v[118:119]
	v_fma_f64 v[134:135], v[130:131], s[10:11], -v[120:121]
	v_fma_f64 v[120:121], v[130:131], s[10:11], v[120:121]
	v_fma_f64 v[136:137], v[130:131], s[16:17], -v[122:123]
	v_fma_f64 v[122:123], v[130:131], s[16:17], v[122:123]
	v_fma_f64 v[138:139], v[130:131], s[8:9], -v[128:129]
	v_fma_f64 v[128:129], v[130:131], s[8:9], v[128:129]
	v_fma_f64 v[140:141], v[130:131], s[2:3], -v[116:117]
	v_fma_f64 v[116:117], v[130:131], s[2:3], v[116:117]
	v_add_f64 v[130:131], v[124:125], -v[158:159]
	v_mul_f64 v[24:25], v[239:240], s[36:37]
	v_mul_f64 v[4:5], v[239:240], s[24:25]
	v_add_f64 v[203:204], v[112:113], v[132:133]
	v_add_f64 v[118:119], v[112:113], v[118:119]
	;; [unrolled: 1-line block ×6, first 2 shown]
	v_mul_f64 v[142:143], v[130:131], s[26:27]
	v_mul_f64 v[144:145], v[130:131], s[22:23]
	;; [unrolled: 1-line block ×5, first 2 shown]
	v_fma_f64 v[26:27], v[241:242], s[18:19], -v[24:25]
	v_fma_f64 v[6:7], v[241:242], s[8:9], -v[4:5]
	v_fma_f64 v[4:5], v[241:242], s[8:9], v[4:5]
	v_fma_f64 v[197:198], v[150:151], s[18:19], -v[142:143]
	v_fma_f64 v[152:153], v[150:151], s[10:11], v[144:145]
	;; [unrolled: 2-line block ×6, first 2 shown]
	v_add_f64 v[150:151], v[112:113], v[122:123]
	v_add_f64 v[124:125], v[114:115], v[197:198]
	;; [unrolled: 1-line block ×11, first 2 shown]
	v_add_f64 v[142:143], v[162:163], -v[164:165]
	v_add_f64 v[144:145], v[160:161], -v[166:167]
	;; [unrolled: 1-line block ×3, first 2 shown]
	v_add_f64 v[152:153], v[112:113], v[120:121]
	v_add_f64 v[193:194], v[112:113], v[128:129]
	;; [unrolled: 1-line block ×3, first 2 shown]
	v_mul_f64 v[211:212], v[142:143], s[22:23]
	v_mul_f64 v[215:216], v[144:145], s[22:23]
	;; [unrolled: 1-line block ×6, first 2 shown]
	s_mov_b32 s23, 0x3fed1bb4
	v_mul_f64 v[28:29], v[144:145], s[30:31]
	v_mul_f64 v[32:33], v[146:147], s[22:23]
	v_mul_f64 v[8:9], v[144:145], s[34:35]
	v_fma_f64 v[116:117], v[209:210], s[10:11], v[211:212]
	v_fma_f64 v[120:121], v[217:218], s[16:17], v[219:220]
	v_fma_f64 v[14:15], v[217:218], s[2:3], -v[12:13]
	v_fma_f64 v[122:123], v[213:214], s[8:9], v[253:254]
	v_fma_f64 v[30:31], v[213:214], s[2:3], v[28:29]
	v_fma_f64 v[34:35], v[217:218], s[10:11], -v[32:33]
	v_fma_f64 v[10:11], v[213:214], s[16:17], v[8:9]
	v_fma_f64 v[8:9], v[213:214], s[16:17], -v[8:9]
	v_add_f64 v[116:117], v[116:117], v[118:119]
	v_fma_f64 v[118:119], v[213:214], s[10:11], -v[215:216]
	v_add_f64 v[122:123], v[122:123], v[132:133]
	v_add_f64 v[30:31], v[30:31], v[136:137]
	v_mul_f64 v[136:137], v[144:145], s[36:37]
	v_add_f64 v[10:11], v[10:11], v[154:155]
	v_mul_f64 v[154:155], v[146:147], s[26:27]
	v_add_f64 v[8:9], v[8:9], v[148:149]
	v_add_f64 v[116:117], v[120:121], v[116:117]
	;; [unrolled: 1-line block ×3, first 2 shown]
	v_fma_f64 v[120:121], v[223:224], s[16:17], -v[225:226]
	v_add_f64 v[18:19], v[18:19], v[122:123]
	v_add_f64 v[10:11], v[38:39], v[10:11]
	v_fma_f64 v[128:129], v[217:218], s[18:19], -v[154:155]
	v_mul_f64 v[38:39], v[227:228], s[28:29]
	v_add_f64 v[118:119], v[120:121], v[118:119]
	v_fma_f64 v[120:121], v[229:230], s[8:9], v[231:232]
	v_add_f64 v[10:11], v[42:43], v[10:11]
	v_mul_f64 v[42:43], v[239:240], s[22:23]
	s_delay_alu instid0(VALU_DEP_3) | instskip(SKIP_1) | instid1(VALU_DEP_1)
	v_add_f64 v[116:117], v[120:121], v[116:117]
	v_fma_f64 v[120:121], v[235:236], s[8:9], -v[237:238]
	v_add_f64 v[118:119], v[120:121], v[118:119]
	v_fma_f64 v[120:121], v[241:242], s[2:3], v[243:244]
	s_delay_alu instid0(VALU_DEP_1) | instskip(SKIP_1) | instid1(VALU_DEP_1)
	v_add_f64 v[116:117], v[120:121], v[116:117]
	v_fma_f64 v[120:121], v[247:248], s[2:3], -v[249:250]
	v_add_f64 v[118:119], v[120:121], v[118:119]
	v_fma_f64 v[120:121], v[209:210], s[8:9], -v[251:252]
	s_delay_alu instid0(VALU_DEP_1) | instskip(NEXT) | instid1(VALU_DEP_1)
	v_add_f64 v[120:121], v[120:121], v[126:127]
	v_add_f64 v[14:15], v[14:15], v[120:121]
	s_delay_alu instid0(VALU_DEP_1) | instskip(SKIP_1) | instid1(VALU_DEP_1)
	v_add_f64 v[14:15], v[22:23], v[14:15]
	v_mul_f64 v[22:23], v[233:234], s[34:35]
	v_fma_f64 v[120:121], v[235:236], s[16:17], v[22:23]
	s_delay_alu instid0(VALU_DEP_1) | instskip(NEXT) | instid1(VALU_DEP_4)
	v_add_f64 v[18:19], v[120:121], v[18:19]
	v_add_f64 v[120:121], v[26:27], v[14:15]
	v_mul_f64 v[14:15], v[245:246], s[36:37]
	s_delay_alu instid0(VALU_DEP_1) | instskip(NEXT) | instid1(VALU_DEP_1)
	v_fma_f64 v[26:27], v[247:248], s[18:19], v[14:15]
	v_add_f64 v[122:123], v[26:27], v[18:19]
	v_mul_f64 v[18:19], v[142:143], s[30:31]
	s_delay_alu instid0(VALU_DEP_1) | instskip(NEXT) | instid1(VALU_DEP_1)
	v_fma_f64 v[26:27], v[209:210], s[2:3], -v[18:19]
	v_add_f64 v[26:27], v[26:27], v[134:135]
	v_fma_f64 v[134:135], v[213:214], s[18:19], v[136:137]
	s_delay_alu instid0(VALU_DEP_2) | instskip(SKIP_1) | instid1(VALU_DEP_3)
	v_add_f64 v[26:27], v[34:35], v[26:27]
	v_mul_f64 v[34:35], v[221:222], s[22:23]
	v_add_f64 v[134:135], v[134:135], v[195:196]
	v_mul_f64 v[195:196], v[245:246], s[20:21]
	s_delay_alu instid0(VALU_DEP_4) | instskip(NEXT) | instid1(VALU_DEP_4)
	v_add_f64 v[2:3], v[2:3], v[26:27]
	v_fma_f64 v[124:125], v[223:224], s[10:11], v[34:35]
	v_mul_f64 v[26:27], v[233:234], s[26:27]
	s_delay_alu instid0(VALU_DEP_2) | instskip(NEXT) | instid1(VALU_DEP_2)
	v_add_f64 v[30:31], v[124:125], v[30:31]
	v_fma_f64 v[124:125], v[235:236], s[18:19], v[26:27]
	s_delay_alu instid0(VALU_DEP_1) | instskip(SKIP_2) | instid1(VALU_DEP_1)
	v_add_f64 v[30:31], v[124:125], v[30:31]
	v_add_f64 v[124:125], v[6:7], v[2:3]
	v_mul_f64 v[2:3], v[245:246], s[24:25]
	v_fma_f64 v[6:7], v[247:248], s[8:9], v[2:3]
	v_fma_f64 v[2:3], v[247:248], s[8:9], -v[2:3]
	s_delay_alu instid0(VALU_DEP_2) | instskip(SKIP_1) | instid1(VALU_DEP_1)
	v_add_f64 v[126:127], v[6:7], v[30:31]
	v_mul_f64 v[6:7], v[142:143], s[34:35]
	v_fma_f64 v[30:31], v[209:210], s[16:17], -v[6:7]
	v_fma_f64 v[6:7], v[209:210], s[16:17], v[6:7]
	s_delay_alu instid0(VALU_DEP_2) | instskip(SKIP_1) | instid1(VALU_DEP_3)
	v_add_f64 v[30:31], v[30:31], v[138:139]
	v_mul_f64 v[138:139], v[146:147], s[24:25]
	v_add_f64 v[6:7], v[6:7], v[193:194]
	s_delay_alu instid0(VALU_DEP_3) | instskip(SKIP_1) | instid1(VALU_DEP_1)
	v_add_f64 v[30:31], v[128:129], v[30:31]
	v_fma_f64 v[128:129], v[229:230], s[2:3], -v[38:39]
	v_add_f64 v[30:31], v[128:129], v[30:31]
	v_fma_f64 v[128:129], v[241:242], s[10:11], -v[42:43]
	s_delay_alu instid0(VALU_DEP_1) | instskip(SKIP_1) | instid1(VALU_DEP_1)
	v_add_f64 v[128:129], v[128:129], v[30:31]
	v_mul_f64 v[30:31], v[245:246], s[22:23]
	v_fma_f64 v[130:131], v[247:248], s[10:11], v[30:31]
	v_fma_f64 v[30:31], v[247:248], s[10:11], -v[30:31]
	s_delay_alu instid0(VALU_DEP_2) | instskip(SKIP_1) | instid1(VALU_DEP_1)
	v_add_f64 v[130:131], v[130:131], v[10:11]
	v_mul_f64 v[10:11], v[142:143], s[36:37]
	v_fma_f64 v[132:133], v[209:210], s[18:19], -v[10:11]
	v_fma_f64 v[10:11], v[209:210], s[18:19], v[10:11]
	s_delay_alu instid0(VALU_DEP_2) | instskip(SKIP_1) | instid1(VALU_DEP_3)
	v_add_f64 v[132:133], v[132:133], v[140:141]
	v_fma_f64 v[140:141], v[217:218], s[8:9], -v[138:139]
	v_add_f64 v[10:11], v[10:11], v[112:113]
	v_fma_f64 v[112:113], v[213:214], s[18:19], -v[136:137]
	v_fma_f64 v[136:137], v[217:218], s[8:9], v[138:139]
	v_fma_f64 v[138:139], v[247:248], s[16:17], -v[195:196]
	v_add_f64 v[132:133], v[140:141], v[132:133]
	v_mul_f64 v[140:141], v[221:222], s[24:25]
	v_add_f64 v[112:113], v[112:113], v[197:198]
	v_add_f64 v[10:11], v[136:137], v[10:11]
	s_delay_alu instid0(VALU_DEP_3) | instskip(SKIP_1) | instid1(VALU_DEP_2)
	v_fma_f64 v[142:143], v[223:224], s[8:9], v[140:141]
	v_fma_f64 v[136:137], v[223:224], s[8:9], -v[140:141]
	v_add_f64 v[134:135], v[142:143], v[134:135]
	v_mul_f64 v[142:143], v[227:228], s[22:23]
	s_delay_alu instid0(VALU_DEP_3) | instskip(NEXT) | instid1(VALU_DEP_2)
	v_add_f64 v[112:113], v[136:137], v[112:113]
	v_fma_f64 v[144:145], v[229:230], s[10:11], -v[142:143]
	v_fma_f64 v[136:137], v[229:230], s[10:11], v[142:143]
	s_delay_alu instid0(VALU_DEP_2) | instskip(SKIP_1) | instid1(VALU_DEP_3)
	v_add_f64 v[132:133], v[144:145], v[132:133]
	v_mul_f64 v[144:145], v[233:234], s[22:23]
	v_add_f64 v[10:11], v[136:137], v[10:11]
	s_delay_alu instid0(VALU_DEP_2) | instskip(SKIP_1) | instid1(VALU_DEP_2)
	v_fma_f64 v[146:147], v[235:236], s[10:11], v[144:145]
	v_fma_f64 v[136:137], v[235:236], s[10:11], -v[144:145]
	v_add_f64 v[134:135], v[146:147], v[134:135]
	v_mul_f64 v[146:147], v[239:240], s[20:21]
	s_delay_alu instid0(VALU_DEP_3) | instskip(NEXT) | instid1(VALU_DEP_2)
	v_add_f64 v[112:113], v[136:137], v[112:113]
	v_fma_f64 v[136:137], v[241:242], s[16:17], v[146:147]
	v_fma_f64 v[221:222], v[241:242], s[16:17], -v[146:147]
	s_delay_alu instid0(VALU_DEP_3) | instskip(NEXT) | instid1(VALU_DEP_3)
	v_add_f64 v[138:139], v[138:139], v[112:113]
	v_add_f64 v[136:137], v[136:137], v[10:11]
	v_fma_f64 v[10:11], v[217:218], s[18:19], v[154:155]
	s_delay_alu instid0(VALU_DEP_4) | instskip(SKIP_1) | instid1(VALU_DEP_3)
	v_add_f64 v[132:133], v[221:222], v[132:133]
	v_fma_f64 v[221:222], v[247:248], s[16:17], v[195:196]
	v_add_f64 v[6:7], v[10:11], v[6:7]
	v_fma_f64 v[10:11], v[223:224], s[18:19], -v[36:37]
	s_delay_alu instid0(VALU_DEP_3) | instskip(NEXT) | instid1(VALU_DEP_2)
	v_add_f64 v[134:135], v[221:222], v[134:135]
	v_add_f64 v[8:9], v[10:11], v[8:9]
	v_fma_f64 v[10:11], v[229:230], s[2:3], v[38:39]
	s_delay_alu instid0(VALU_DEP_1) | instskip(SKIP_1) | instid1(VALU_DEP_1)
	v_add_f64 v[6:7], v[10:11], v[6:7]
	v_fma_f64 v[10:11], v[235:236], s[2:3], -v[40:41]
	v_add_f64 v[8:9], v[10:11], v[8:9]
	v_fma_f64 v[10:11], v[241:242], s[10:11], v[42:43]
	s_delay_alu instid0(VALU_DEP_2) | instskip(NEXT) | instid1(VALU_DEP_2)
	v_add_f64 v[146:147], v[30:31], v[8:9]
	v_add_f64 v[144:145], v[10:11], v[6:7]
	v_fma_f64 v[6:7], v[209:210], s[2:3], v[18:19]
	v_fma_f64 v[8:9], v[213:214], s[2:3], -v[28:29]
	v_fma_f64 v[10:11], v[217:218], s[10:11], v[32:33]
	s_delay_alu instid0(VALU_DEP_3) | instskip(NEXT) | instid1(VALU_DEP_3)
	v_add_f64 v[6:7], v[6:7], v[150:151]
	v_add_f64 v[8:9], v[8:9], v[205:206]
	s_delay_alu instid0(VALU_DEP_2) | instskip(SKIP_1) | instid1(VALU_DEP_2)
	v_add_f64 v[6:7], v[10:11], v[6:7]
	v_fma_f64 v[10:11], v[223:224], s[10:11], -v[34:35]
	v_add_f64 v[0:1], v[0:1], v[6:7]
	s_delay_alu instid0(VALU_DEP_2) | instskip(SKIP_2) | instid1(VALU_DEP_4)
	v_add_f64 v[8:9], v[10:11], v[8:9]
	v_fma_f64 v[6:7], v[235:236], s[18:19], -v[26:27]
	v_fma_f64 v[10:11], v[235:236], s[8:9], v[237:238]
	v_add_f64 v[148:149], v[4:5], v[0:1]
	v_fma_f64 v[0:1], v[209:210], s[8:9], v[251:252]
	s_delay_alu instid0(VALU_DEP_4) | instskip(SKIP_2) | instid1(VALU_DEP_4)
	v_add_f64 v[6:7], v[6:7], v[8:9]
	v_fma_f64 v[4:5], v[217:218], s[2:3], v[12:13]
	v_fma_f64 v[8:9], v[229:230], s[8:9], -v[231:232]
	v_add_f64 v[0:1], v[0:1], v[152:153]
	s_delay_alu instid0(VALU_DEP_4) | instskip(SKIP_2) | instid1(VALU_DEP_4)
	v_add_f64 v[150:151], v[2:3], v[6:7]
	v_fma_f64 v[2:3], v[213:214], s[8:9], -v[253:254]
	v_fma_f64 v[6:7], v[247:248], s[18:19], -v[14:15]
	v_add_f64 v[0:1], v[4:5], v[0:1]
	v_fma_f64 v[4:5], v[223:224], s[2:3], -v[16:17]
	s_delay_alu instid0(VALU_DEP_4) | instskip(NEXT) | instid1(VALU_DEP_1)
	v_add_f64 v[2:3], v[2:3], v[207:208]
	v_add_f64 v[2:3], v[4:5], v[2:3]
	v_fma_f64 v[4:5], v[229:230], s[16:17], v[20:21]
	s_delay_alu instid0(VALU_DEP_1) | instskip(SKIP_1) | instid1(VALU_DEP_1)
	v_add_f64 v[0:1], v[4:5], v[0:1]
	v_fma_f64 v[4:5], v[235:236], s[16:17], -v[22:23]
	v_add_f64 v[2:3], v[4:5], v[2:3]
	v_fma_f64 v[4:5], v[241:242], s[18:19], v[24:25]
	s_delay_alu instid0(VALU_DEP_2) | instskip(NEXT) | instid1(VALU_DEP_2)
	v_add_f64 v[154:155], v[6:7], v[2:3]
	v_add_f64 v[152:153], v[4:5], v[0:1]
	v_fma_f64 v[0:1], v[209:210], s[10:11], -v[211:212]
	v_fma_f64 v[2:3], v[213:214], s[10:11], v[215:216]
	v_fma_f64 v[4:5], v[217:218], s[16:17], -v[219:220]
	v_fma_f64 v[6:7], v[223:224], s[16:17], v[225:226]
	s_delay_alu instid0(VALU_DEP_4) | instskip(NEXT) | instid1(VALU_DEP_4)
	v_add_f64 v[0:1], v[0:1], v[203:204]
	v_add_f64 v[2:3], v[2:3], v[114:115]
	s_delay_alu instid0(VALU_DEP_2) | instskip(NEXT) | instid1(VALU_DEP_2)
	v_add_f64 v[0:1], v[4:5], v[0:1]
	v_add_f64 v[2:3], v[6:7], v[2:3]
	v_fma_f64 v[4:5], v[241:242], s[2:3], -v[243:244]
	v_fma_f64 v[6:7], v[247:248], s[2:3], v[249:250]
	s_delay_alu instid0(VALU_DEP_4) | instskip(NEXT) | instid1(VALU_DEP_4)
	v_add_f64 v[0:1], v[8:9], v[0:1]
	v_add_f64 v[2:3], v[10:11], v[2:3]
	s_delay_alu instid0(VALU_DEP_2) | instskip(NEXT) | instid1(VALU_DEP_2)
	v_add_f64 v[140:141], v[4:5], v[0:1]
	v_add_f64 v[142:143], v[6:7], v[2:3]
	;; [unrolled: 1-line block ×4, first 2 shown]
	s_delay_alu instid0(VALU_DEP_2) | instskip(NEXT) | instid1(VALU_DEP_2)
	v_add_f64 v[0:1], v[0:1], v[168:169]
	v_add_f64 v[2:3], v[2:3], v[170:171]
	s_delay_alu instid0(VALU_DEP_2) | instskip(NEXT) | instid1(VALU_DEP_2)
	v_add_f64 v[0:1], v[0:1], v[176:177]
	v_add_f64 v[2:3], v[2:3], v[178:179]
	;; [unrolled: 3-line block ×8, first 2 shown]
	ds_store_b128 v255, v[120:123] offset:3808
	ds_store_b128 v255, v[124:127] offset:5712
	;; [unrolled: 1-line block ×10, first 2 shown]
	ds_store_b128 v255, v[112:115]
	s_waitcnt lgkmcnt(0)
	s_barrier
	buffer_gl0_inv
	s_and_saveexec_b32 s2, vcc_lo
	s_cbranch_execz .LBB0_13
; %bb.12:
	v_add_co_u32 v156, s1, s12, v255
	s_delay_alu instid0(VALU_DEP_1) | instskip(NEXT) | instid1(VALU_DEP_2)
	v_add_co_ci_u32_e64 v157, null, s13, 0, s1
	v_add_co_u32 v0, s1, 0x5000, v156
	s_delay_alu instid0(VALU_DEP_1) | instskip(SKIP_2) | instid1(VALU_DEP_1)
	v_add_co_ci_u32_e64 v1, s1, 0, v157, s1
	global_load_b128 v[158:161], v[0:1], off offset:464
	v_add_co_u32 v0, s1, 0x51d0, v156
	v_add_co_ci_u32_e64 v1, s1, 0, v157, s1
	s_clause 0x2
	global_load_b128 v[162:165], v[0:1], off offset:1232
	global_load_b128 v[166:169], v[0:1], off offset:2464
	;; [unrolled: 1-line block ×3, first 2 shown]
	v_add_co_u32 v0, s1, 0x6000, v156
	s_delay_alu instid0(VALU_DEP_1)
	v_add_co_ci_u32_e64 v1, s1, 0, v157, s1
	s_clause 0x1
	global_load_b128 v[174:177], v[0:1], off offset:1296
	global_load_b128 v[178:181], v[0:1], off offset:2528
	ds_load_b128 v[185:188], v255
	ds_load_b128 v[189:192], v255 offset:1232
	s_waitcnt vmcnt(5) lgkmcnt(1)
	v_mul_f64 v[2:3], v[187:188], v[160:161]
	v_mul_f64 v[4:5], v[185:186], v[160:161]
	s_delay_alu instid0(VALU_DEP_2) | instskip(NEXT) | instid1(VALU_DEP_2)
	v_fma_f64 v[185:186], v[185:186], v[158:159], -v[2:3]
	v_fma_f64 v[187:188], v[187:188], v[158:159], v[4:5]
	s_waitcnt vmcnt(4) lgkmcnt(0)
	v_mul_f64 v[2:3], v[191:192], v[164:165]
	v_mul_f64 v[4:5], v[189:190], v[164:165]
	ds_load_b128 v[158:161], v255 offset:2464
	v_fma_f64 v[189:190], v[189:190], v[162:163], -v[2:3]
	v_fma_f64 v[191:192], v[191:192], v[162:163], v[4:5]
	ds_load_b128 v[162:165], v255 offset:3696
	s_waitcnt vmcnt(3) lgkmcnt(1)
	v_mul_f64 v[2:3], v[160:161], v[168:169]
	v_mul_f64 v[4:5], v[158:159], v[168:169]
	s_delay_alu instid0(VALU_DEP_2) | instskip(NEXT) | instid1(VALU_DEP_2)
	v_fma_f64 v[158:159], v[158:159], v[166:167], -v[2:3]
	v_fma_f64 v[160:161], v[160:161], v[166:167], v[4:5]
	s_waitcnt vmcnt(2) lgkmcnt(0)
	v_mul_f64 v[2:3], v[164:165], v[172:173]
	v_mul_f64 v[4:5], v[162:163], v[172:173]
	ds_load_b128 v[166:169], v255 offset:4928
	v_fma_f64 v[162:163], v[162:163], v[170:171], -v[2:3]
	v_fma_f64 v[164:165], v[164:165], v[170:171], v[4:5]
	ds_load_b128 v[170:173], v255 offset:6160
	s_waitcnt vmcnt(1) lgkmcnt(1)
	v_mul_f64 v[2:3], v[168:169], v[176:177]
	v_mul_f64 v[4:5], v[166:167], v[176:177]
	s_delay_alu instid0(VALU_DEP_2) | instskip(NEXT) | instid1(VALU_DEP_2)
	v_fma_f64 v[166:167], v[166:167], v[174:175], -v[2:3]
	v_fma_f64 v[168:169], v[168:169], v[174:175], v[4:5]
	global_load_b128 v[174:177], v[0:1], off offset:3760
	s_waitcnt vmcnt(1) lgkmcnt(0)
	v_mul_f64 v[0:1], v[172:173], v[180:181]
	v_mul_f64 v[2:3], v[170:171], v[180:181]
	v_add_co_u32 v4, s1, 0x7000, v156
	s_delay_alu instid0(VALU_DEP_1) | instskip(NEXT) | instid1(VALU_DEP_4)
	v_add_co_ci_u32_e64 v5, s1, 0, v157, s1
	v_fma_f64 v[170:171], v[170:171], v[178:179], -v[0:1]
	s_delay_alu instid0(VALU_DEP_4)
	v_fma_f64 v[172:173], v[172:173], v[178:179], v[2:3]
	global_load_b128 v[178:181], v[4:5], off offset:896
	ds_load_b128 v[193:196], v255 offset:7392
	ds_load_b128 v[197:200], v255 offset:8624
	s_waitcnt vmcnt(1) lgkmcnt(1)
	v_mul_f64 v[0:1], v[195:196], v[176:177]
	v_mul_f64 v[2:3], v[193:194], v[176:177]
	s_delay_alu instid0(VALU_DEP_2) | instskip(NEXT) | instid1(VALU_DEP_2)
	v_fma_f64 v[193:194], v[193:194], v[174:175], -v[0:1]
	v_fma_f64 v[195:196], v[195:196], v[174:175], v[2:3]
	s_waitcnt vmcnt(0) lgkmcnt(0)
	v_mul_f64 v[0:1], v[199:200], v[180:181]
	v_mul_f64 v[2:3], v[197:198], v[180:181]
	s_delay_alu instid0(VALU_DEP_2) | instskip(NEXT) | instid1(VALU_DEP_2)
	v_fma_f64 v[174:175], v[197:198], v[178:179], -v[0:1]
	v_fma_f64 v[176:177], v[199:200], v[178:179], v[2:3]
	s_clause 0x1
	global_load_b128 v[178:181], v[4:5], off offset:2128
	global_load_b128 v[197:200], v[4:5], off offset:3360
	ds_load_b128 v[201:204], v255 offset:9856
	ds_load_b128 v[205:208], v255 offset:11088
	s_waitcnt vmcnt(1) lgkmcnt(1)
	v_mul_f64 v[0:1], v[203:204], v[180:181]
	v_mul_f64 v[2:3], v[201:202], v[180:181]
	s_delay_alu instid0(VALU_DEP_2) | instskip(SKIP_2) | instid1(VALU_DEP_3)
	v_fma_f64 v[180:181], v[201:202], v[178:179], -v[0:1]
	s_waitcnt vmcnt(0) lgkmcnt(0)
	v_mul_f64 v[0:1], v[207:208], v[199:200]
	v_fma_f64 v[182:183], v[203:204], v[178:179], v[2:3]
	v_mul_f64 v[2:3], v[205:206], v[199:200]
	s_delay_alu instid0(VALU_DEP_3) | instskip(SKIP_1) | instid1(VALU_DEP_1)
	v_fma_f64 v[199:200], v[205:206], v[197:198], -v[0:1]
	v_add_co_u32 v0, s1, 0x8000, v156
	v_add_co_ci_u32_e64 v1, s1, 0, v157, s1
	s_delay_alu instid0(VALU_DEP_4)
	v_fma_f64 v[201:202], v[207:208], v[197:198], v[2:3]
	s_clause 0x1
	global_load_b128 v[203:206], v[0:1], off offset:496
	global_load_b128 v[207:210], v[0:1], off offset:1728
	ds_load_b128 v[211:214], v255 offset:12320
	ds_load_b128 v[215:218], v255 offset:13552
	s_waitcnt vmcnt(1) lgkmcnt(1)
	v_mul_f64 v[2:3], v[213:214], v[205:206]
	v_mul_f64 v[4:5], v[211:212], v[205:206]
	s_delay_alu instid0(VALU_DEP_2) | instskip(SKIP_2) | instid1(VALU_DEP_3)
	v_fma_f64 v[211:212], v[211:212], v[203:204], -v[2:3]
	s_waitcnt vmcnt(0) lgkmcnt(0)
	v_mul_f64 v[2:3], v[217:218], v[209:210]
	v_fma_f64 v[213:214], v[213:214], v[203:204], v[4:5]
	v_mul_f64 v[4:5], v[215:216], v[209:210]
	s_delay_alu instid0(VALU_DEP_3) | instskip(SKIP_1) | instid1(VALU_DEP_1)
	v_fma_f64 v[203:204], v[215:216], v[207:208], -v[2:3]
	v_add_co_u32 v2, s1, 0x9000, v156
	v_add_co_ci_u32_e64 v3, s1, 0, v157, s1
	s_delay_alu instid0(VALU_DEP_4)
	v_fma_f64 v[205:206], v[217:218], v[207:208], v[4:5]
	s_clause 0x1
	global_load_b128 v[207:210], v[0:1], off offset:2960
	global_load_b128 v[215:218], v[2:3], off offset:96
	ds_load_b128 v[219:222], v255 offset:14784
	ds_load_b128 v[223:226], v255 offset:16016
	s_waitcnt vmcnt(1) lgkmcnt(1)
	v_mul_f64 v[0:1], v[221:222], v[209:210]
	v_mul_f64 v[4:5], v[219:220], v[209:210]
	s_delay_alu instid0(VALU_DEP_2) | instskip(NEXT) | instid1(VALU_DEP_2)
	v_fma_f64 v[219:220], v[219:220], v[207:208], -v[0:1]
	v_fma_f64 v[221:222], v[221:222], v[207:208], v[4:5]
	s_waitcnt vmcnt(0) lgkmcnt(0)
	v_mul_f64 v[0:1], v[225:226], v[217:218]
	v_mul_f64 v[4:5], v[223:224], v[217:218]
	s_delay_alu instid0(VALU_DEP_2) | instskip(NEXT) | instid1(VALU_DEP_2)
	v_fma_f64 v[207:208], v[223:224], v[215:216], -v[0:1]
	v_fma_f64 v[209:210], v[225:226], v[215:216], v[4:5]
	s_clause 0x1
	global_load_b128 v[215:218], v[2:3], off offset:1328
	global_load_b128 v[223:226], v[2:3], off offset:2560
	ds_load_b128 v[227:230], v255 offset:17248
	ds_load_b128 v[231:234], v255 offset:18480
	s_waitcnt vmcnt(1) lgkmcnt(1)
	v_mul_f64 v[0:1], v[229:230], v[217:218]
	v_mul_f64 v[4:5], v[227:228], v[217:218]
	s_delay_alu instid0(VALU_DEP_2) | instskip(NEXT) | instid1(VALU_DEP_2)
	v_fma_f64 v[227:228], v[227:228], v[215:216], -v[0:1]
	v_fma_f64 v[229:230], v[229:230], v[215:216], v[4:5]
	s_waitcnt vmcnt(0) lgkmcnt(0)
	v_mul_f64 v[0:1], v[233:234], v[225:226]
	v_mul_f64 v[4:5], v[231:232], v[225:226]
	s_delay_alu instid0(VALU_DEP_2) | instskip(NEXT) | instid1(VALU_DEP_2)
	v_fma_f64 v[215:216], v[231:232], v[223:224], -v[0:1]
	v_fma_f64 v[217:218], v[233:234], v[223:224], v[4:5]
	global_load_b128 v[223:226], v[2:3], off offset:3792
	ds_load_b128 v[231:234], v255 offset:19712
	s_waitcnt vmcnt(0) lgkmcnt(0)
	v_mul_f64 v[0:1], v[233:234], v[225:226]
	v_mul_f64 v[2:3], v[231:232], v[225:226]
	s_delay_alu instid0(VALU_DEP_2) | instskip(NEXT) | instid1(VALU_DEP_2)
	v_fma_f64 v[231:232], v[231:232], v[223:224], -v[0:1]
	v_fma_f64 v[233:234], v[233:234], v[223:224], v[2:3]
	ds_store_b128 v255, v[185:188]
	ds_store_b128 v255, v[189:192] offset:1232
	ds_store_b128 v255, v[158:161] offset:2464
	;; [unrolled: 1-line block ×16, first 2 shown]
.LBB0_13:
	s_or_b32 exec_lo, exec_lo, s2
	s_waitcnt lgkmcnt(0)
	s_barrier
	buffer_gl0_inv
	s_and_saveexec_b32 s1, vcc_lo
	s_cbranch_execz .LBB0_15
; %bb.14:
	ds_load_b128 v[112:115], v255
	ds_load_b128 v[140:143], v255 offset:1232
	ds_load_b128 v[120:123], v255 offset:2464
	;; [unrolled: 1-line block ×14, first 2 shown]
	s_waitcnt lgkmcnt(0)
	scratch_store_b128 off, v[0:3], off offset:44 ; 16-byte Folded Spill
	ds_load_b128 v[0:3], v255 offset:18480
	s_waitcnt lgkmcnt(0)
	scratch_store_b128 off, v[0:3], off offset:28 ; 16-byte Folded Spill
	ds_load_b128 v[0:3], v255 offset:19712
	s_waitcnt lgkmcnt(0)
	scratch_store_b128 off, v[0:3], off offset:12 ; 16-byte Folded Spill
.LBB0_15:
	s_or_b32 exec_lo, exec_lo, s1
	s_clause 0x2
	scratch_load_b128 v[36:39], off, off offset:12
	scratch_load_b128 v[40:43], off, off offset:28
	;; [unrolled: 1-line block ×3, first 2 shown]
	s_mov_b32 s8, 0xeb564b22
	s_mov_b32 s9, 0xbfefdd0d
	;; [unrolled: 1-line block ×14, first 2 shown]
	v_add_f64 v[207:208], v[130:131], -v[102:103]
	s_mov_b32 s34, 0x5d8e7cdc
	s_mov_b32 s35, 0x3fd71e95
	v_add_f64 v[199:200], v[128:129], v[100:101]
	s_mov_b32 s22, 0x370991
	s_mov_b32 s23, 0x3fedd6d0
	v_add_f64 v[213:214], v[130:131], v[102:103]
	v_add_f64 v[219:220], v[128:129], -v[100:101]
	v_add_f64 v[217:218], v[134:135], -v[106:107]
	s_mov_b32 s44, 0x7c9e640b
	s_mov_b32 s45, 0x3feca52d
	;; [unrolled: 1-line block ×4, first 2 shown]
	v_add_f64 v[215:216], v[132:133], v[104:105]
	s_mov_b32 s26, 0x2b2883cd
	s_mov_b32 s27, 0x3fdc86fa
	v_add_f64 v[223:224], v[134:135], v[106:107]
	v_add_f64 v[235:236], v[132:133], -v[104:105]
	v_add_f64 v[231:232], v[138:139], -v[110:111]
	s_mov_b32 s36, 0x4363dd80
	s_mov_b32 s37, 0xbfe0d888
	v_add_f64 v[227:228], v[136:137], v[108:109]
	s_mov_b32 s30, 0x910ea3b9
	s_mov_b32 s31, 0xbfeb34fa
	v_add_f64 v[229:230], v[138:139], v[110:111]
	v_add_f64 v[243:244], v[136:137], -v[108:109]
	v_add_f64 v[241:242], v[146:147], -v[118:119]
	s_mov_b32 s40, 0x6c9a05f6
	s_mov_b32 s41, 0xbfe9895b
	;; [unrolled: 1-line block ×4, first 2 shown]
	v_add_f64 v[233:234], v[144:145], v[116:117]
	s_mov_b32 s38, 0x6ed5f1bb
	s_mov_b32 s39, 0xbfe348c8
	v_add_f64 v[237:238], v[146:147], v[118:119]
	v_add_f64 v[253:254], v[144:145], -v[116:117]
	v_add_f64 v[251:252], v[150:151], -v[154:155]
	s_mov_b32 s46, 0x2a9d6da3
	s_mov_b32 s47, 0x3fe58eea
	v_add_f64 v[239:240], v[148:149], v[152:153]
	s_mov_b32 s42, 0x75d4884
	s_mov_b32 s43, 0x3fe7a5f6
	v_add_f64 v[245:246], v[150:151], v[154:155]
	v_add_f64 v[205:206], v[148:149], -v[152:153]
	s_mov_b32 s55, 0x3fe0d888
	s_mov_b32 s54, s36
	;; [unrolled: 1-line block ×10, first 2 shown]
	s_waitcnt vmcnt(2)
	v_add_f64 v[203:204], v[142:143], -v[38:39]
	v_add_f64 v[201:202], v[140:141], v[36:37]
	s_waitcnt vmcnt(1)
	v_add_f64 v[187:188], v[122:123], -v[42:43]
	v_add_f64 v[185:186], v[120:121], v[40:41]
	v_add_f64 v[189:190], v[122:123], v[42:43]
	;; [unrolled: 1-line block ×3, first 2 shown]
	v_add_f64 v[221:222], v[140:141], -v[36:37]
	v_add_f64 v[195:196], v[120:121], -v[40:41]
	s_waitcnt vmcnt(0)
	v_add_f64 v[193:194], v[126:127], -v[249:250]
	v_add_f64 v[191:192], v[124:125], v[247:248]
	v_add_f64 v[197:198], v[126:127], v[249:250]
	v_add_f64 v[209:210], v[124:125], -v[247:248]
	v_mul_f64 v[0:1], v[203:204], s[8:9]
	v_mul_f64 v[2:3], v[187:188], s[16:17]
	v_mul_f64 v[4:5], v[189:190], s[10:11]
	v_mul_f64 v[225:226], v[211:212], s[38:39]
	v_mul_f64 v[10:11], v[189:190], s[26:27]
	scratch_store_b64 off, v[0:1], off offset:208 ; 8-byte Folded Spill
	v_fma_f64 v[0:1], v[201:202], s[2:3], -v[0:1]
	scratch_store_b64 off, v[2:3], off offset:216 ; 8-byte Folded Spill
	v_fma_f64 v[2:3], v[185:186], s[10:11], -v[2:3]
	scratch_store_b64 off, v[4:5], off offset:224 ; 8-byte Folded Spill
	v_fma_f64 v[4:5], v[195:196], s[16:17], v[4:5]
	v_fma_f64 v[12:13], v[195:196], s[28:29], v[10:11]
	v_add_f64 v[0:1], v[112:113], v[0:1]
	s_delay_alu instid0(VALU_DEP_1) | instskip(SKIP_3) | instid1(VALU_DEP_1)
	v_add_f64 v[0:1], v[2:3], v[0:1]
	v_mul_f64 v[2:3], v[211:212], s[2:3]
	scratch_store_b64 off, v[2:3], off offset:256 ; 8-byte Folded Spill
	v_fma_f64 v[2:3], v[221:222], s[8:9], v[2:3]
	v_add_f64 v[2:3], v[114:115], v[2:3]
	s_delay_alu instid0(VALU_DEP_1) | instskip(SKIP_3) | instid1(VALU_DEP_1)
	v_add_f64 v[2:3], v[4:5], v[2:3]
	v_mul_f64 v[4:5], v[193:194], s[24:25]
	scratch_store_b64 off, v[4:5], off offset:232 ; 8-byte Folded Spill
	v_fma_f64 v[4:5], v[191:192], s[18:19], -v[4:5]
	v_add_f64 v[0:1], v[4:5], v[0:1]
	v_mul_f64 v[4:5], v[197:198], s[18:19]
	scratch_store_b64 off, v[4:5], off offset:240 ; 8-byte Folded Spill
	v_fma_f64 v[4:5], v[209:210], s[24:25], v[4:5]
	s_delay_alu instid0(VALU_DEP_1) | instskip(SKIP_3) | instid1(VALU_DEP_1)
	v_add_f64 v[2:3], v[4:5], v[2:3]
	v_mul_f64 v[4:5], v[207:208], s[34:35]
	scratch_store_b64 off, v[4:5], off offset:248 ; 8-byte Folded Spill
	v_fma_f64 v[4:5], v[199:200], s[22:23], -v[4:5]
	v_add_f64 v[0:1], v[4:5], v[0:1]
	v_mul_f64 v[4:5], v[213:214], s[22:23]
	scratch_store_b64 off, v[4:5], off offset:264 ; 8-byte Folded Spill
	v_fma_f64 v[4:5], v[219:220], s[34:35], v[4:5]
	;; [unrolled: 9-line block ×5, first 2 shown]
	s_delay_alu instid0(VALU_DEP_1) | instskip(SKIP_3) | instid1(VALU_DEP_1)
	v_add_f64 v[2:3], v[4:5], v[2:3]
	v_mul_f64 v[4:5], v[251:252], s[46:47]
	scratch_store_b64 off, v[4:5], off offset:312 ; 8-byte Folded Spill
	v_fma_f64 v[4:5], v[239:240], s[42:43], -v[4:5]
	v_add_f64 v[156:157], v[4:5], v[0:1]
	v_mul_f64 v[0:1], v[245:246], s[42:43]
	v_mul_f64 v[4:5], v[189:190], s[30:31]
	s_clause 0x1
	scratch_store_b64 off, v[0:1], off offset:328
	scratch_store_b64 off, v[4:5], off offset:352
	v_fma_f64 v[0:1], v[205:206], s[46:47], v[0:1]
	v_fma_f64 v[4:5], v[195:196], s[54:55], v[4:5]
	s_delay_alu instid0(VALU_DEP_2)
	v_add_f64 v[158:159], v[0:1], v[2:3]
	v_mul_f64 v[0:1], v[203:204], s[20:21]
	v_mul_f64 v[2:3], v[187:188], s[54:55]
	s_clause 0x1
	scratch_store_b64 off, v[0:1], off offset:448
	scratch_store_b64 off, v[2:3], off offset:336
	v_fma_f64 v[0:1], v[201:202], s[18:19], -v[0:1]
	v_fma_f64 v[2:3], v[185:186], s[30:31], -v[2:3]
	s_delay_alu instid0(VALU_DEP_2) | instskip(NEXT) | instid1(VALU_DEP_1)
	v_add_f64 v[0:1], v[112:113], v[0:1]
	v_add_f64 v[0:1], v[2:3], v[0:1]
	v_mul_f64 v[2:3], v[211:212], s[18:19]
	scratch_store_b64 off, v[2:3], off offset:464 ; 8-byte Folded Spill
	v_fma_f64 v[2:3], v[221:222], s[20:21], v[2:3]
	s_delay_alu instid0(VALU_DEP_1) | instskip(NEXT) | instid1(VALU_DEP_1)
	v_add_f64 v[2:3], v[114:115], v[2:3]
	v_add_f64 v[2:3], v[4:5], v[2:3]
	v_mul_f64 v[4:5], v[193:194], s[46:47]
	scratch_store_b64 off, v[4:5], off offset:344 ; 8-byte Folded Spill
	v_fma_f64 v[4:5], v[191:192], s[42:43], -v[4:5]
	s_delay_alu instid0(VALU_DEP_1) | instskip(SKIP_3) | instid1(VALU_DEP_1)
	v_add_f64 v[0:1], v[4:5], v[0:1]
	v_mul_f64 v[4:5], v[197:198], s[42:43]
	scratch_store_b64 off, v[4:5], off offset:376 ; 8-byte Folded Spill
	v_fma_f64 v[4:5], v[209:210], s[46:47], v[4:5]
	v_add_f64 v[2:3], v[4:5], v[2:3]
	v_mul_f64 v[4:5], v[207:208], s[28:29]
	scratch_store_b64 off, v[4:5], off offset:360 ; 8-byte Folded Spill
	v_fma_f64 v[4:5], v[199:200], s[26:27], -v[4:5]
	s_delay_alu instid0(VALU_DEP_1) | instskip(SKIP_3) | instid1(VALU_DEP_1)
	v_add_f64 v[0:1], v[4:5], v[0:1]
	v_mul_f64 v[4:5], v[213:214], s[26:27]
	scratch_store_b64 off, v[4:5], off offset:408 ; 8-byte Folded Spill
	v_fma_f64 v[4:5], v[219:220], s[28:29], v[4:5]
	;; [unrolled: 9-line block ×5, first 2 shown]
	v_add_f64 v[2:3], v[4:5], v[2:3]
	v_mul_f64 v[4:5], v[251:252], s[40:41]
	scratch_store_b64 off, v[4:5], off offset:368 ; 8-byte Folded Spill
	v_fma_f64 v[4:5], v[239:240], s[38:39], -v[4:5]
	s_delay_alu instid0(VALU_DEP_1)
	v_add_f64 v[164:165], v[4:5], v[0:1]
	v_mul_f64 v[0:1], v[245:246], s[38:39]
	v_mul_f64 v[4:5], v[189:190], s[18:19]
	s_clause 0x1
	scratch_store_b64 off, v[0:1], off offset:432
	scratch_store_b64 off, v[4:5], off offset:480
	v_fma_f64 v[0:1], v[205:206], s[40:41], v[0:1]
	v_fma_f64 v[4:5], v[195:196], s[24:25], v[4:5]
	s_delay_alu instid0(VALU_DEP_2)
	v_add_f64 v[166:167], v[0:1], v[2:3]
	v_mul_f64 v[0:1], v[203:204], s[40:41]
	v_mul_f64 v[2:3], v[187:188], s[24:25]
	s_clause 0x1
	scratch_store_b64 off, v[0:1], off offset:576
	scratch_store_b64 off, v[2:3], off offset:456
	v_fma_f64 v[0:1], v[201:202], s[38:39], -v[0:1]
	v_fma_f64 v[2:3], v[185:186], s[18:19], -v[2:3]
	s_delay_alu instid0(VALU_DEP_2) | instskip(NEXT) | instid1(VALU_DEP_1)
	v_add_f64 v[0:1], v[112:113], v[0:1]
	v_add_f64 v[0:1], v[2:3], v[0:1]
	v_fma_f64 v[2:3], v[221:222], s[40:41], v[225:226]
	s_delay_alu instid0(VALU_DEP_1) | instskip(NEXT) | instid1(VALU_DEP_1)
	v_add_f64 v[2:3], v[114:115], v[2:3]
	v_add_f64 v[2:3], v[4:5], v[2:3]
	v_mul_f64 v[4:5], v[193:194], s[52:53]
	scratch_store_b64 off, v[4:5], off offset:472 ; 8-byte Folded Spill
	v_fma_f64 v[4:5], v[191:192], s[22:23], -v[4:5]
	s_delay_alu instid0(VALU_DEP_1) | instskip(SKIP_3) | instid1(VALU_DEP_1)
	v_add_f64 v[0:1], v[4:5], v[0:1]
	v_mul_f64 v[4:5], v[197:198], s[22:23]
	scratch_store_b64 off, v[4:5], off offset:512 ; 8-byte Folded Spill
	v_fma_f64 v[4:5], v[209:210], s[52:53], v[4:5]
	v_add_f64 v[2:3], v[4:5], v[2:3]
	v_mul_f64 v[4:5], v[207:208], s[36:37]
	scratch_store_b64 off, v[4:5], off offset:488 ; 8-byte Folded Spill
	v_fma_f64 v[4:5], v[199:200], s[30:31], -v[4:5]
	s_delay_alu instid0(VALU_DEP_1) | instskip(SKIP_3) | instid1(VALU_DEP_1)
	v_add_f64 v[0:1], v[4:5], v[0:1]
	v_mul_f64 v[4:5], v[213:214], s[30:31]
	scratch_store_b64 off, v[4:5], off offset:552 ; 8-byte Folded Spill
	v_fma_f64 v[4:5], v[219:220], s[36:37], v[4:5]
	v_add_f64 v[2:3], v[4:5], v[2:3]
	v_mul_f64 v[4:5], v[217:218], s[58:59]
	scratch_store_b64 off, v[4:5], off offset:528 ; 8-byte Folded Spill
	v_fma_f64 v[4:5], v[215:216], s[2:3], -v[4:5]
	s_delay_alu instid0(VALU_DEP_1) | instskip(SKIP_3) | instid1(VALU_DEP_1)
	v_add_f64 v[0:1], v[4:5], v[0:1]
	v_mul_f64 v[4:5], v[223:224], s[2:3]
	scratch_store_b64 off, v[4:5], off offset:568 ; 8-byte Folded Spill
	v_fma_f64 v[4:5], v[235:236], s[58:59], v[4:5]
	v_add_f64 v[2:3], v[4:5], v[2:3]
	v_mul_f64 v[4:5], v[231:232], s[48:49]
	scratch_store_b64 off, v[4:5], off offset:520 ; 8-byte Folded Spill
	v_fma_f64 v[4:5], v[227:228], s[42:43], -v[4:5]
	s_delay_alu instid0(VALU_DEP_1) | instskip(SKIP_3) | instid1(VALU_DEP_1)
	v_add_f64 v[0:1], v[4:5], v[0:1]
	v_mul_f64 v[4:5], v[229:230], s[42:43]
	scratch_store_b64 off, v[4:5], off offset:560 ; 8-byte Folded Spill
	v_fma_f64 v[4:5], v[243:244], s[48:49], v[4:5]
	v_add_f64 v[2:3], v[4:5], v[2:3]
	v_mul_f64 v[4:5], v[241:242], s[16:17]
	scratch_store_b64 off, v[4:5], off offset:504 ; 8-byte Folded Spill
	v_fma_f64 v[4:5], v[233:234], s[10:11], -v[4:5]
	s_delay_alu instid0(VALU_DEP_1) | instskip(SKIP_3) | instid1(VALU_DEP_1)
	v_add_f64 v[0:1], v[4:5], v[0:1]
	v_mul_f64 v[4:5], v[237:238], s[10:11]
	scratch_store_b64 off, v[4:5], off offset:536 ; 8-byte Folded Spill
	v_fma_f64 v[4:5], v[253:254], s[16:17], v[4:5]
	v_add_f64 v[2:3], v[4:5], v[2:3]
	v_mul_f64 v[4:5], v[251:252], s[44:45]
	scratch_store_b64 off, v[4:5], off offset:496 ; 8-byte Folded Spill
	v_fma_f64 v[4:5], v[239:240], s[26:27], -v[4:5]
	s_delay_alu instid0(VALU_DEP_1)
	v_add_f64 v[168:169], v[4:5], v[0:1]
	v_mul_f64 v[0:1], v[245:246], s[26:27]
	v_mul_f64 v[4:5], v[187:188], s[44:45]
	scratch_store_b64 off, v[0:1], off offset:544 ; 8-byte Folded Spill
	v_fma_f64 v[0:1], v[205:206], s[44:45], v[0:1]
	v_fma_f64 v[6:7], v[185:186], s[26:27], v[4:5]
	v_fma_f64 v[4:5], v[185:186], s[26:27], -v[4:5]
	s_waitcnt_vscnt null, 0x0
	s_barrier
	buffer_gl0_inv
	v_add_f64 v[170:171], v[0:1], v[2:3]
	v_mul_f64 v[0:1], v[203:204], s[36:37]
	s_delay_alu instid0(VALU_DEP_1) | instskip(SKIP_1) | instid1(VALU_DEP_2)
	v_fma_f64 v[2:3], v[201:202], s[30:31], v[0:1]
	v_fma_f64 v[0:1], v[201:202], s[30:31], -v[0:1]
	v_add_f64 v[2:3], v[112:113], v[2:3]
	s_delay_alu instid0(VALU_DEP_2) | instskip(NEXT) | instid1(VALU_DEP_2)
	v_add_f64 v[0:1], v[112:113], v[0:1]
	v_add_f64 v[2:3], v[6:7], v[2:3]
	v_mul_f64 v[6:7], v[211:212], s[30:31]
	s_delay_alu instid0(VALU_DEP_3) | instskip(NEXT) | instid1(VALU_DEP_2)
	v_add_f64 v[0:1], v[4:5], v[0:1]
	v_fma_f64 v[8:9], v[221:222], s[54:55], v[6:7]
	v_fma_f64 v[4:5], v[221:222], s[36:37], v[6:7]
	;; [unrolled: 1-line block ×3, first 2 shown]
	v_mul_f64 v[10:11], v[189:190], s[22:23]
	s_delay_alu instid0(VALU_DEP_4) | instskip(NEXT) | instid1(VALU_DEP_4)
	v_add_f64 v[8:9], v[114:115], v[8:9]
	v_add_f64 v[4:5], v[114:115], v[4:5]
	s_delay_alu instid0(VALU_DEP_2) | instskip(SKIP_1) | instid1(VALU_DEP_3)
	v_add_f64 v[8:9], v[12:13], v[8:9]
	v_mul_f64 v[12:13], v[193:194], s[8:9]
	v_add_f64 v[4:5], v[6:7], v[4:5]
	s_delay_alu instid0(VALU_DEP_2) | instskip(SKIP_2) | instid1(VALU_DEP_3)
	v_fma_f64 v[14:15], v[191:192], s[2:3], v[12:13]
	v_fma_f64 v[6:7], v[191:192], s[2:3], -v[12:13]
	v_fma_f64 v[12:13], v[195:196], s[52:53], v[10:11]
	v_add_f64 v[2:3], v[14:15], v[2:3]
	v_mul_f64 v[14:15], v[197:198], s[2:3]
	s_delay_alu instid0(VALU_DEP_4) | instskip(NEXT) | instid1(VALU_DEP_2)
	v_add_f64 v[0:1], v[6:7], v[0:1]
	v_fma_f64 v[16:17], v[209:210], s[58:59], v[14:15]
	v_fma_f64 v[6:7], v[209:210], s[8:9], v[14:15]
	s_delay_alu instid0(VALU_DEP_2) | instskip(SKIP_1) | instid1(VALU_DEP_3)
	v_add_f64 v[8:9], v[16:17], v[8:9]
	v_mul_f64 v[16:17], v[207:208], s[50:51]
	v_add_f64 v[4:5], v[6:7], v[4:5]
	s_delay_alu instid0(VALU_DEP_2) | instskip(SKIP_1) | instid1(VALU_DEP_2)
	v_fma_f64 v[18:19], v[199:200], s[38:39], v[16:17]
	v_fma_f64 v[6:7], v[199:200], s[38:39], -v[16:17]
	v_add_f64 v[2:3], v[18:19], v[2:3]
	v_mul_f64 v[18:19], v[213:214], s[38:39]
	s_delay_alu instid0(VALU_DEP_3) | instskip(NEXT) | instid1(VALU_DEP_2)
	v_add_f64 v[0:1], v[6:7], v[0:1]
	v_fma_f64 v[20:21], v[219:220], s[40:41], v[18:19]
	v_fma_f64 v[6:7], v[219:220], s[50:51], v[18:19]
	s_delay_alu instid0(VALU_DEP_2) | instskip(SKIP_1) | instid1(VALU_DEP_3)
	v_add_f64 v[8:9], v[20:21], v[8:9]
	v_mul_f64 v[20:21], v[217:218], s[52:53]
	v_add_f64 v[4:5], v[6:7], v[4:5]
	s_delay_alu instid0(VALU_DEP_2) | instskip(SKIP_1) | instid1(VALU_DEP_2)
	v_fma_f64 v[22:23], v[215:216], s[22:23], v[20:21]
	v_fma_f64 v[6:7], v[215:216], s[22:23], -v[20:21]
	v_add_f64 v[2:3], v[22:23], v[2:3]
	v_mul_f64 v[22:23], v[223:224], s[22:23]
	s_delay_alu instid0(VALU_DEP_3) | instskip(NEXT) | instid1(VALU_DEP_2)
	;; [unrolled: 13-line block ×4, first 2 shown]
	v_add_f64 v[0:1], v[6:7], v[0:1]
	v_fma_f64 v[32:33], v[253:254], s[48:49], v[30:31]
	v_fma_f64 v[6:7], v[253:254], s[46:47], v[30:31]
	s_delay_alu instid0(VALU_DEP_2) | instskip(SKIP_1) | instid1(VALU_DEP_3)
	v_add_f64 v[8:9], v[32:33], v[8:9]
	v_mul_f64 v[32:33], v[251:252], s[20:21]
	v_add_f64 v[4:5], v[6:7], v[4:5]
	s_delay_alu instid0(VALU_DEP_2) | instskip(SKIP_1) | instid1(VALU_DEP_2)
	v_fma_f64 v[34:35], v[239:240], s[18:19], v[32:33]
	v_fma_f64 v[6:7], v[239:240], s[18:19], -v[32:33]
	v_add_f64 v[160:161], v[34:35], v[2:3]
	v_mul_f64 v[2:3], v[245:246], s[18:19]
	s_delay_alu instid0(VALU_DEP_3) | instskip(SKIP_1) | instid1(VALU_DEP_3)
	v_add_f64 v[172:173], v[6:7], v[0:1]
	v_mul_f64 v[0:1], v[203:204], s[16:17]
	v_fma_f64 v[34:35], v[205:206], s[24:25], v[2:3]
	v_fma_f64 v[2:3], v[205:206], s[20:21], v[2:3]
	s_delay_alu instid0(VALU_DEP_2) | instskip(NEXT) | instid1(VALU_DEP_2)
	v_add_f64 v[162:163], v[34:35], v[8:9]
	v_add_f64 v[174:175], v[2:3], v[4:5]
	v_fma_f64 v[2:3], v[201:202], s[10:11], v[0:1]
	v_mul_f64 v[4:5], v[187:188], s[34:35]
	v_fma_f64 v[0:1], v[201:202], s[10:11], -v[0:1]
	s_delay_alu instid0(VALU_DEP_3) | instskip(NEXT) | instid1(VALU_DEP_3)
	v_add_f64 v[2:3], v[112:113], v[2:3]
	v_fma_f64 v[6:7], v[185:186], s[22:23], v[4:5]
	v_fma_f64 v[4:5], v[185:186], s[22:23], -v[4:5]
	s_delay_alu instid0(VALU_DEP_4) | instskip(NEXT) | instid1(VALU_DEP_3)
	v_add_f64 v[0:1], v[112:113], v[0:1]
	v_add_f64 v[2:3], v[6:7], v[2:3]
	v_mul_f64 v[6:7], v[211:212], s[10:11]
	s_delay_alu instid0(VALU_DEP_3) | instskip(NEXT) | instid1(VALU_DEP_2)
	v_add_f64 v[0:1], v[4:5], v[0:1]
	v_fma_f64 v[8:9], v[221:222], s[56:57], v[6:7]
	v_fma_f64 v[4:5], v[221:222], s[16:17], v[6:7]
	;; [unrolled: 1-line block ×3, first 2 shown]
	s_delay_alu instid0(VALU_DEP_3) | instskip(NEXT) | instid1(VALU_DEP_3)
	v_add_f64 v[8:9], v[114:115], v[8:9]
	v_add_f64 v[4:5], v[114:115], v[4:5]
	s_delay_alu instid0(VALU_DEP_2) | instskip(SKIP_1) | instid1(VALU_DEP_3)
	v_add_f64 v[8:9], v[12:13], v[8:9]
	v_mul_f64 v[12:13], v[193:194], s[36:37]
	v_add_f64 v[4:5], v[6:7], v[4:5]
	s_delay_alu instid0(VALU_DEP_2) | instskip(SKIP_1) | instid1(VALU_DEP_2)
	v_fma_f64 v[14:15], v[191:192], s[30:31], v[12:13]
	v_fma_f64 v[6:7], v[191:192], s[30:31], -v[12:13]
	v_add_f64 v[2:3], v[14:15], v[2:3]
	v_mul_f64 v[14:15], v[197:198], s[30:31]
	s_delay_alu instid0(VALU_DEP_3) | instskip(NEXT) | instid1(VALU_DEP_2)
	v_add_f64 v[0:1], v[6:7], v[0:1]
	v_fma_f64 v[16:17], v[209:210], s[54:55], v[14:15]
	v_fma_f64 v[6:7], v[209:210], s[36:37], v[14:15]
	s_delay_alu instid0(VALU_DEP_2) | instskip(SKIP_1) | instid1(VALU_DEP_3)
	v_add_f64 v[8:9], v[16:17], v[8:9]
	v_mul_f64 v[16:17], v[207:208], s[46:47]
	v_add_f64 v[4:5], v[6:7], v[4:5]
	s_delay_alu instid0(VALU_DEP_2) | instskip(SKIP_1) | instid1(VALU_DEP_2)
	v_fma_f64 v[18:19], v[199:200], s[42:43], v[16:17]
	v_fma_f64 v[6:7], v[199:200], s[42:43], -v[16:17]
	v_add_f64 v[2:3], v[18:19], v[2:3]
	v_mul_f64 v[18:19], v[213:214], s[42:43]
	s_delay_alu instid0(VALU_DEP_3) | instskip(NEXT) | instid1(VALU_DEP_2)
	v_add_f64 v[0:1], v[6:7], v[0:1]
	v_fma_f64 v[20:21], v[219:220], s[48:49], v[18:19]
	v_fma_f64 v[6:7], v[219:220], s[46:47], v[18:19]
	;; [unrolled: 13-line block ×6, first 2 shown]
	s_delay_alu instid0(VALU_DEP_2) | instskip(NEXT) | instid1(VALU_DEP_2)
	v_add_f64 v[178:179], v[34:35], v[8:9]
	v_add_f64 v[182:183], v[2:3], v[4:5]
	s_and_saveexec_b32 s1, vcc_lo
	s_cbranch_execz .LBB0_17
; %bb.16:
	v_add_f64 v[0:1], v[114:115], v[142:143]
	v_add_f64 v[2:3], v[112:113], v[140:141]
	s_clause 0x4
	scratch_load_b64 v[8:9], off, off offset:576
	scratch_load_b64 v[10:11], off, off offset:464
	;; [unrolled: 1-line block ×5, first 2 shown]
	v_mul_f64 v[6:7], v[201:202], s[38:39]
	v_mul_f64 v[28:29], v[203:204], s[28:29]
	;; [unrolled: 1-line block ×8, first 2 shown]
	v_add_f64 v[0:1], v[0:1], v[122:123]
	v_add_f64 v[2:3], v[2:3], v[120:121]
	v_mul_f64 v[120:121], v[235:236], s[54:55]
	v_mul_f64 v[122:123], v[217:218], s[54:55]
	v_fma_f64 v[34:35], v[201:202], s[26:27], -v[28:29]
	v_fma_f64 v[28:29], v[201:202], s[26:27], v[28:29]
	v_fma_f64 v[24:25], v[211:212], s[42:43], v[18:19]
	v_fma_f64 v[18:19], v[211:212], s[42:43], -v[18:19]
	v_fma_f64 v[26:27], v[211:212], s[22:23], v[20:21]
	v_fma_f64 v[20:21], v[211:212], s[22:23], -v[20:21]
	v_add_f64 v[0:1], v[0:1], v[126:127]
	v_add_f64 v[2:3], v[2:3], v[124:125]
	v_mul_f64 v[124:125], v[243:244], s[24:25]
	v_mul_f64 v[126:127], v[231:232], s[24:25]
	v_add_f64 v[34:35], v[112:113], v[34:35]
	v_add_f64 v[28:29], v[112:113], v[28:29]
	;; [unrolled: 1-line block ×8, first 2 shown]
	v_mul_f64 v[128:129], v[253:254], s[44:45]
	v_mul_f64 v[130:131], v[241:242], s[44:45]
	s_delay_alu instid0(VALU_DEP_4) | instskip(NEXT) | instid1(VALU_DEP_4)
	v_add_f64 v[0:1], v[0:1], v[134:135]
	v_add_f64 v[2:3], v[2:3], v[132:133]
	v_mul_f64 v[132:133], v[205:206], s[34:35]
	v_mul_f64 v[134:135], v[193:194], s[56:57]
	s_delay_alu instid0(VALU_DEP_4) | instskip(NEXT) | instid1(VALU_DEP_4)
	v_add_f64 v[0:1], v[0:1], v[138:139]
	v_add_f64 v[2:3], v[2:3], v[136:137]
	;; [unrolled: 5-line block ×5, first 2 shown]
	v_mul_f64 v[152:153], v[205:206], s[36:37]
	s_waitcnt vmcnt(4)
	v_add_f64 v[6:7], v[6:7], v[8:9]
	v_mul_f64 v[8:9], v[221:222], s[20:21]
	v_add_f64 v[0:1], v[0:1], v[118:119]
	v_add_f64 v[2:3], v[2:3], v[116:117]
	v_mul_f64 v[116:117], v[219:220], s[16:17]
	v_mul_f64 v[118:119], v[207:208], s[16:17]
	v_add_f64 v[6:7], v[112:113], v[6:7]
	s_waitcnt vmcnt(3)
	v_add_f64 v[8:9], v[10:11], -v[8:9]
	v_mul_f64 v[10:11], v[201:202], s[18:19]
	v_add_f64 v[0:1], v[0:1], v[110:111]
	v_add_f64 v[2:3], v[2:3], v[108:109]
	s_clause 0x1
	scratch_load_b64 v[108:109], off, off offset:488
	scratch_load_b64 v[110:111], off, off offset:472
	v_add_f64 v[8:9], v[114:115], v[8:9]
	s_waitcnt vmcnt(4)
	v_add_f64 v[10:11], v[10:11], v[12:13]
	v_mul_f64 v[12:13], v[221:222], s[8:9]
	v_add_f64 v[0:1], v[0:1], v[106:107]
	v_add_f64 v[2:3], v[2:3], v[104:105]
	s_clause 0x1
	scratch_load_b64 v[104:105], off, off offset:480
	scratch_load_b64 v[106:107], off, off offset:528
	v_add_f64 v[10:11], v[112:113], v[10:11]
	s_waitcnt vmcnt(5)
	v_add_f64 v[12:13], v[14:15], -v[12:13]
	v_mul_f64 v[14:15], v[201:202], s[2:3]
	v_add_f64 v[0:1], v[0:1], v[102:103]
	v_add_f64 v[2:3], v[2:3], v[100:101]
	s_clause 0x1
	scratch_load_b64 v[100:101], off, off offset:552
	scratch_load_b64 v[102:103], off, off offset:512
	v_add_f64 v[12:13], v[114:115], v[12:13]
	s_waitcnt vmcnt(6)
	v_add_f64 v[14:15], v[14:15], v[16:17]
	v_mul_f64 v[16:17], v[221:222], s[28:29]
	v_add_f64 v[0:1], v[0:1], v[249:250]
	v_add_f64 v[2:3], v[2:3], v[247:248]
	s_delay_alu instid0(VALU_DEP_4) | instskip(NEXT) | instid1(VALU_DEP_4)
	v_add_f64 v[14:15], v[112:113], v[14:15]
	v_fma_f64 v[22:23], v[211:212], s[26:27], v[16:17]
	v_fma_f64 v[16:17], v[211:212], s[26:27], -v[16:17]
	v_add_f64 v[0:1], v[0:1], v[42:43]
	scratch_load_b64 v[42:43], off, off offset:568 ; 8-byte Folded Reload
	v_add_f64 v[4:5], v[2:3], v[40:41]
	v_mul_f64 v[40:41], v[235:236], s[58:59]
	v_add_f64 v[22:23], v[114:115], v[22:23]
	v_add_f64 v[16:17], v[114:115], v[16:17]
	;; [unrolled: 1-line block ×3, first 2 shown]
	v_fma_f64 v[38:39], v[201:202], s[22:23], -v[32:33]
	v_add_f64 v[0:1], v[4:5], v[36:37]
	v_fma_f64 v[36:37], v[201:202], s[42:43], -v[30:31]
	v_fma_f64 v[30:31], v[201:202], s[42:43], v[30:31]
	v_fma_f64 v[32:33], v[201:202], s[22:23], v[32:33]
	v_mul_f64 v[4:5], v[221:222], s[40:41]
	v_add_f64 v[38:39], v[112:113], v[38:39]
	v_add_f64 v[36:37], v[112:113], v[36:37]
	;; [unrolled: 1-line block ×4, first 2 shown]
	scratch_load_b64 v[112:113], off, off offset:456 ; 8-byte Folded Reload
	v_add_f64 v[4:5], v[225:226], -v[4:5]
	s_delay_alu instid0(VALU_DEP_1) | instskip(SKIP_4) | instid1(VALU_DEP_1)
	v_add_f64 v[4:5], v[114:115], v[4:5]
	scratch_load_b64 v[114:115], off, off offset:560 ; 8-byte Folded Reload
	s_waitcnt vmcnt(2)
	v_add_f64 v[40:41], v[42:43], -v[40:41]
	v_mul_f64 v[42:43], v[219:220], s[36:37]
	v_add_f64 v[42:43], v[100:101], -v[42:43]
	v_mul_f64 v[100:101], v[209:210], s[52:53]
	s_delay_alu instid0(VALU_DEP_1) | instskip(SKIP_1) | instid1(VALU_DEP_1)
	v_add_f64 v[100:101], v[102:103], -v[100:101]
	v_mul_f64 v[102:103], v[195:196], s[24:25]
	v_add_f64 v[102:103], v[104:105], -v[102:103]
	v_mul_f64 v[104:105], v[215:216], s[2:3]
	s_delay_alu instid0(VALU_DEP_2) | instskip(NEXT) | instid1(VALU_DEP_2)
	v_add_f64 v[4:5], v[102:103], v[4:5]
	v_add_f64 v[104:105], v[104:105], v[106:107]
	v_mul_f64 v[106:107], v[199:200], s[30:31]
	v_mul_f64 v[102:103], v[227:228], s[42:43]
	s_delay_alu instid0(VALU_DEP_4) | instskip(SKIP_1) | instid1(VALU_DEP_4)
	v_add_f64 v[4:5], v[100:101], v[4:5]
	v_mul_f64 v[100:101], v[253:254], s[16:17]
	v_add_f64 v[106:107], v[106:107], v[108:109]
	v_mul_f64 v[108:109], v[191:192], s[22:23]
	s_delay_alu instid0(VALU_DEP_4) | instskip(SKIP_1) | instid1(VALU_DEP_3)
	v_add_f64 v[4:5], v[42:43], v[4:5]
	v_mul_f64 v[42:43], v[233:234], s[10:11]
	v_add_f64 v[108:109], v[108:109], v[110:111]
	v_mul_f64 v[110:111], v[185:186], s[18:19]
	s_delay_alu instid0(VALU_DEP_4) | instskip(SKIP_2) | instid1(VALU_DEP_3)
	v_add_f64 v[4:5], v[40:41], v[4:5]
	v_mul_f64 v[40:41], v[205:206], s[44:45]
	s_waitcnt vmcnt(1)
	v_add_f64 v[110:111], v[110:111], v[112:113]
	v_mul_f64 v[112:113], v[243:244], s[48:49]
	s_delay_alu instid0(VALU_DEP_2)
	v_add_f64 v[6:7], v[110:111], v[6:7]
	scratch_load_b64 v[110:111], off, off offset:520 ; 8-byte Folded Reload
	v_add_f64 v[6:7], v[108:109], v[6:7]
	scratch_load_b64 v[108:109], off, off offset:536 ; 8-byte Folded Reload
	v_add_f64 v[6:7], v[106:107], v[6:7]
	scratch_load_b64 v[106:107], off, off offset:504 ; 8-byte Folded Reload
	v_add_f64 v[6:7], v[104:105], v[6:7]
	scratch_load_b64 v[104:105], off, off offset:544 ; 8-byte Folded Reload
	s_waitcnt vmcnt(4)
	v_add_f64 v[112:113], v[114:115], -v[112:113]
	scratch_load_b64 v[114:115], off, off offset:416 ; 8-byte Folded Reload
	v_add_f64 v[4:5], v[112:113], v[4:5]
	scratch_load_b64 v[112:113], off, off offset:336 ; 8-byte Folded Reload
	s_waitcnt vmcnt(5)
	v_add_f64 v[102:103], v[102:103], v[110:111]
	s_waitcnt vmcnt(4)
	v_add_f64 v[100:101], v[108:109], -v[100:101]
	s_delay_alu instid0(VALU_DEP_2)
	v_add_f64 v[6:7], v[102:103], v[6:7]
	v_mul_f64 v[102:103], v[239:240], s[26:27]
	s_clause 0x1
	scratch_load_b64 v[108:109], off, off offset:360
	scratch_load_b64 v[110:111], off, off offset:344
	v_add_f64 v[4:5], v[100:101], v[4:5]
	scratch_load_b64 v[100:101], off, off offset:408 ; 8-byte Folded Reload
	s_waitcnt vmcnt(5)
	v_add_f64 v[40:41], v[104:105], -v[40:41]
	scratch_load_b64 v[104:105], off, off offset:496 ; 8-byte Folded Reload
	v_add_f64 v[42:43], v[42:43], v[106:107]
	scratch_load_b64 v[106:107], off, off offset:400 ; 8-byte Folded Reload
	v_add_f64 v[42:43], v[42:43], v[6:7]
	v_add_f64 v[6:7], v[40:41], v[4:5]
	v_mul_f64 v[40:41], v[235:236], s[16:17]
	s_waitcnt vmcnt(1)
	v_add_f64 v[102:103], v[102:103], v[104:105]
	scratch_load_b64 v[104:105], off, off offset:352 ; 8-byte Folded Reload
	v_add_f64 v[4:5], v[102:103], v[42:43]
	s_clause 0x1
	scratch_load_b64 v[42:43], off, off offset:440
	scratch_load_b64 v[102:103], off, off offset:376
	s_waitcnt vmcnt(1)
	v_add_f64 v[40:41], v[42:43], -v[40:41]
	v_mul_f64 v[42:43], v[219:220], s[28:29]
	s_delay_alu instid0(VALU_DEP_1) | instskip(SKIP_2) | instid1(VALU_DEP_1)
	v_add_f64 v[42:43], v[100:101], -v[42:43]
	v_mul_f64 v[100:101], v[209:210], s[46:47]
	s_waitcnt vmcnt(0)
	v_add_f64 v[100:101], v[102:103], -v[100:101]
	v_mul_f64 v[102:103], v[195:196], s[54:55]
	s_delay_alu instid0(VALU_DEP_1) | instskip(SKIP_1) | instid1(VALU_DEP_2)
	v_add_f64 v[102:103], v[104:105], -v[102:103]
	v_mul_f64 v[104:105], v[215:216], s[10:11]
	v_add_f64 v[8:9], v[102:103], v[8:9]
	s_delay_alu instid0(VALU_DEP_2) | instskip(SKIP_2) | instid1(VALU_DEP_4)
	v_add_f64 v[104:105], v[104:105], v[106:107]
	v_mul_f64 v[106:107], v[199:200], s[26:27]
	v_mul_f64 v[102:103], v[227:228], s[2:3]
	v_add_f64 v[8:9], v[100:101], v[8:9]
	v_mul_f64 v[100:101], v[253:254], s[52:53]
	s_delay_alu instid0(VALU_DEP_4) | instskip(SKIP_1) | instid1(VALU_DEP_4)
	v_add_f64 v[106:107], v[106:107], v[108:109]
	v_mul_f64 v[108:109], v[191:192], s[42:43]
	v_add_f64 v[8:9], v[42:43], v[8:9]
	v_mul_f64 v[42:43], v[233:234], s[22:23]
	s_delay_alu instid0(VALU_DEP_3) | instskip(SKIP_1) | instid1(VALU_DEP_4)
	v_add_f64 v[108:109], v[108:109], v[110:111]
	v_mul_f64 v[110:111], v[185:186], s[30:31]
	v_add_f64 v[8:9], v[40:41], v[8:9]
	v_mul_f64 v[40:41], v[205:206], s[40:41]
	s_delay_alu instid0(VALU_DEP_3) | instskip(SKIP_1) | instid1(VALU_DEP_2)
	v_add_f64 v[110:111], v[110:111], v[112:113]
	v_mul_f64 v[112:113], v[243:244], s[58:59]
	v_add_f64 v[10:11], v[110:111], v[10:11]
	scratch_load_b64 v[110:111], off, off offset:384 ; 8-byte Folded Reload
	v_add_f64 v[10:11], v[108:109], v[10:11]
	scratch_load_b64 v[108:109], off, off offset:424 ; 8-byte Folded Reload
	;; [unrolled: 2-line block ×3, first 2 shown]
	v_add_f64 v[112:113], v[114:115], -v[112:113]
	scratch_load_b64 v[114:115], off, off offset:304 ; 8-byte Folded Reload
	v_add_f64 v[10:11], v[104:105], v[10:11]
	scratch_load_b64 v[104:105], off, off offset:432 ; 8-byte Folded Reload
	v_add_f64 v[8:9], v[112:113], v[8:9]
	s_waitcnt vmcnt(3)
	v_add_f64 v[100:101], v[108:109], -v[100:101]
	s_waitcnt vmcnt(2)
	v_add_f64 v[42:43], v[42:43], v[106:107]
	s_delay_alu instid0(VALU_DEP_2)
	v_add_f64 v[8:9], v[100:101], v[8:9]
	s_clause 0x2
	scratch_load_b64 v[100:101], off, off offset:264
	scratch_load_b64 v[106:107], off, off offset:272
	;; [unrolled: 1-line block ×3, first 2 shown]
	s_waitcnt vmcnt(3)
	v_add_f64 v[40:41], v[104:105], -v[40:41]
	scratch_load_b64 v[104:105], off, off offset:368 ; 8-byte Folded Reload
	v_add_f64 v[102:103], v[102:103], v[110:111]
	s_clause 0x1
	scratch_load_b64 v[110:111], off, off offset:232
	scratch_load_b64 v[112:113], off, off offset:216
	v_add_f64 v[10:11], v[102:103], v[10:11]
	v_mul_f64 v[102:103], v[239:240], s[38:39]
	s_delay_alu instid0(VALU_DEP_2) | instskip(SKIP_3) | instid1(VALU_DEP_4)
	v_add_f64 v[42:43], v[42:43], v[10:11]
	v_add_f64 v[10:11], v[40:41], v[8:9]
	v_mul_f64 v[40:41], v[235:236], s[28:29]
	s_waitcnt vmcnt(2)
	v_add_f64 v[102:103], v[102:103], v[104:105]
	scratch_load_b64 v[104:105], off, off offset:224 ; 8-byte Folded Reload
	v_add_f64 v[8:9], v[102:103], v[42:43]
	s_clause 0x1
	scratch_load_b64 v[42:43], off, off offset:288
	scratch_load_b64 v[102:103], off, off offset:240
	s_waitcnt vmcnt(1)
	v_add_f64 v[40:41], v[42:43], -v[40:41]
	v_mul_f64 v[42:43], v[219:220], s[34:35]
	s_delay_alu instid0(VALU_DEP_1) | instskip(SKIP_2) | instid1(VALU_DEP_1)
	v_add_f64 v[42:43], v[100:101], -v[42:43]
	v_mul_f64 v[100:101], v[209:210], s[24:25]
	s_waitcnt vmcnt(0)
	v_add_f64 v[100:101], v[102:103], -v[100:101]
	v_mul_f64 v[102:103], v[195:196], s[16:17]
	s_delay_alu instid0(VALU_DEP_1) | instskip(SKIP_1) | instid1(VALU_DEP_2)
	v_add_f64 v[102:103], v[104:105], -v[102:103]
	v_mul_f64 v[104:105], v[215:216], s[26:27]
	v_add_f64 v[12:13], v[102:103], v[12:13]
	s_delay_alu instid0(VALU_DEP_2) | instskip(SKIP_2) | instid1(VALU_DEP_4)
	v_add_f64 v[104:105], v[104:105], v[106:107]
	v_mul_f64 v[106:107], v[199:200], s[22:23]
	v_mul_f64 v[102:103], v[227:228], s[30:31]
	v_add_f64 v[12:13], v[100:101], v[12:13]
	v_mul_f64 v[100:101], v[253:254], s[50:51]
	s_delay_alu instid0(VALU_DEP_4) | instskip(SKIP_1) | instid1(VALU_DEP_4)
	v_add_f64 v[106:107], v[106:107], v[108:109]
	v_mul_f64 v[108:109], v[191:192], s[18:19]
	v_add_f64 v[12:13], v[42:43], v[12:13]
	v_mul_f64 v[42:43], v[233:234], s[38:39]
	s_delay_alu instid0(VALU_DEP_3) | instskip(SKIP_1) | instid1(VALU_DEP_4)
	v_add_f64 v[108:109], v[108:109], v[110:111]
	v_mul_f64 v[110:111], v[185:186], s[10:11]
	v_add_f64 v[12:13], v[40:41], v[12:13]
	v_mul_f64 v[40:41], v[205:206], s[46:47]
	s_delay_alu instid0(VALU_DEP_3) | instskip(SKIP_1) | instid1(VALU_DEP_2)
	v_add_f64 v[110:111], v[110:111], v[112:113]
	v_mul_f64 v[112:113], v[243:244], s[36:37]
	v_add_f64 v[14:15], v[110:111], v[14:15]
	scratch_load_b64 v[110:111], off, off offset:280 ; 8-byte Folded Reload
	v_add_f64 v[14:15], v[108:109], v[14:15]
	scratch_load_b64 v[108:109], off, off offset:320 ; 8-byte Folded Reload
	v_add_f64 v[14:15], v[106:107], v[14:15]
	s_delay_alu instid0(VALU_DEP_1)
	v_add_f64 v[14:15], v[104:105], v[14:15]
	scratch_load_b64 v[104:105], off, off offset:328 ; 8-byte Folded Reload
	s_waitcnt vmcnt(1)
	v_add_f64 v[100:101], v[108:109], -v[100:101]
	s_waitcnt vmcnt(0)
	v_add_f64 v[40:41], v[104:105], -v[40:41]
	s_clause 0x1
	scratch_load_b64 v[104:105], off, off offset:312
	scratch_load_b64 v[106:107], off, off offset:296
	v_add_f64 v[112:113], v[114:115], -v[112:113]
	v_add_f64 v[102:103], v[102:103], v[110:111]
	v_mul_f64 v[114:115], v[209:210], s[56:57]
	s_delay_alu instid0(VALU_DEP_3) | instskip(NEXT) | instid1(VALU_DEP_3)
	v_add_f64 v[12:13], v[112:113], v[12:13]
	v_add_f64 v[14:15], v[102:103], v[14:15]
	v_mul_f64 v[102:103], v[239:240], s[42:43]
	v_mul_f64 v[112:113], v[187:188], s[40:41]
	s_delay_alu instid0(VALU_DEP_4) | instskip(SKIP_1) | instid1(VALU_DEP_3)
	v_add_f64 v[12:13], v[100:101], v[12:13]
	s_waitcnt vmcnt(1)
	v_add_f64 v[104:105], v[102:103], v[104:105]
	s_waitcnt vmcnt(0)
	v_add_f64 v[42:43], v[42:43], v[106:107]
	s_delay_alu instid0(VALU_DEP_3) | instskip(SKIP_1) | instid1(VALU_DEP_3)
	v_add_f64 v[102:103], v[40:41], v[12:13]
	v_mul_f64 v[12:13], v[195:196], s[8:9]
	v_add_f64 v[14:15], v[42:43], v[14:15]
	s_delay_alu instid0(VALU_DEP_1) | instskip(NEXT) | instid1(VALU_DEP_3)
	v_add_f64 v[100:101], v[104:105], v[14:15]
	v_fma_f64 v[14:15], v[189:190], s[2:3], -v[12:13]
	v_fma_f64 v[12:13], v[189:190], s[2:3], v[12:13]
	s_delay_alu instid0(VALU_DEP_2) | instskip(SKIP_1) | instid1(VALU_DEP_3)
	v_add_f64 v[14:15], v[14:15], v[18:19]
	v_mul_f64 v[18:19], v[187:188], s[8:9]
	v_add_f64 v[12:13], v[12:13], v[24:25]
	s_delay_alu instid0(VALU_DEP_2) | instskip(NEXT) | instid1(VALU_DEP_1)
	v_fma_f64 v[40:41], v[185:186], s[2:3], v[18:19]
	v_add_f64 v[30:31], v[40:41], v[30:31]
	v_mul_f64 v[40:41], v[209:210], s[40:41]
	s_delay_alu instid0(VALU_DEP_1) | instskip(NEXT) | instid1(VALU_DEP_1)
	v_fma_f64 v[42:43], v[197:198], s[38:39], -v[40:41]
	v_add_f64 v[14:15], v[42:43], v[14:15]
	v_mul_f64 v[42:43], v[193:194], s[40:41]
	s_delay_alu instid0(VALU_DEP_1) | instskip(NEXT) | instid1(VALU_DEP_1)
	v_fma_f64 v[104:105], v[191:192], s[38:39], v[42:43]
	v_add_f64 v[30:31], v[104:105], v[30:31]
	v_fma_f64 v[104:105], v[213:214], s[10:11], -v[116:117]
	s_delay_alu instid0(VALU_DEP_1) | instskip(SKIP_1) | instid1(VALU_DEP_1)
	v_add_f64 v[14:15], v[104:105], v[14:15]
	v_fma_f64 v[104:105], v[199:200], s[10:11], v[118:119]
	v_add_f64 v[30:31], v[104:105], v[30:31]
	v_fma_f64 v[104:105], v[223:224], s[30:31], -v[120:121]
	s_delay_alu instid0(VALU_DEP_1) | instskip(SKIP_1) | instid1(VALU_DEP_1)
	v_add_f64 v[14:15], v[104:105], v[14:15]
	;; [unrolled: 5-line block ×5, first 2 shown]
	v_mul_f64 v[14:15], v[251:252], s[34:35]
	v_fma_f64 v[104:105], v[239:240], s[22:23], v[14:15]
	v_fma_f64 v[14:15], v[239:240], s[22:23], -v[14:15]
	s_delay_alu instid0(VALU_DEP_2) | instskip(SKIP_1) | instid1(VALU_DEP_1)
	v_add_f64 v[104:105], v[104:105], v[30:31]
	v_mul_f64 v[30:31], v[195:196], s[40:41]
	v_fma_f64 v[108:109], v[189:190], s[38:39], -v[30:31]
	s_delay_alu instid0(VALU_DEP_1) | instskip(SKIP_1) | instid1(VALU_DEP_1)
	v_add_f64 v[16:17], v[108:109], v[16:17]
	v_fma_f64 v[108:109], v[185:186], s[38:39], v[112:113]
	v_add_f64 v[28:29], v[108:109], v[28:29]
	v_fma_f64 v[108:109], v[197:198], s[10:11], -v[114:115]
	s_delay_alu instid0(VALU_DEP_1) | instskip(SKIP_1) | instid1(VALU_DEP_1)
	v_add_f64 v[16:17], v[108:109], v[16:17]
	v_fma_f64 v[108:109], v[191:192], s[10:11], v[134:135]
	v_add_f64 v[28:29], v[108:109], v[28:29]
	;; [unrolled: 5-line block ×6, first 2 shown]
	v_fma_f64 v[108:109], v[245:246], s[30:31], -v[152:153]
	s_delay_alu instid0(VALU_DEP_1) | instskip(SKIP_1) | instid1(VALU_DEP_1)
	v_add_f64 v[110:111], v[108:109], v[16:17]
	v_mul_f64 v[16:17], v[251:252], s[36:37]
	v_fma_f64 v[108:109], v[239:240], s[30:31], v[16:17]
	v_fma_f64 v[16:17], v[239:240], s[30:31], -v[16:17]
	s_delay_alu instid0(VALU_DEP_2) | instskip(SKIP_2) | instid1(VALU_DEP_2)
	v_add_f64 v[108:109], v[108:109], v[28:29]
	v_fma_f64 v[28:29], v[189:190], s[38:39], v[30:31]
	v_fma_f64 v[30:31], v[197:198], s[10:11], v[114:115]
	v_add_f64 v[22:23], v[28:29], v[22:23]
	v_fma_f64 v[28:29], v[185:186], s[38:39], -v[112:113]
	s_delay_alu instid0(VALU_DEP_2) | instskip(NEXT) | instid1(VALU_DEP_2)
	v_add_f64 v[22:23], v[30:31], v[22:23]
	v_add_f64 v[28:29], v[28:29], v[34:35]
	v_fma_f64 v[30:31], v[191:192], s[10:11], -v[134:135]
	s_delay_alu instid0(VALU_DEP_1) | instskip(SKIP_1) | instid1(VALU_DEP_1)
	v_add_f64 v[28:29], v[30:31], v[28:29]
	v_fma_f64 v[30:31], v[213:214], s[18:19], v[136:137]
	v_add_f64 v[22:23], v[30:31], v[22:23]
	v_fma_f64 v[30:31], v[199:200], s[18:19], -v[138:139]
	s_delay_alu instid0(VALU_DEP_1) | instskip(SKIP_1) | instid1(VALU_DEP_1)
	v_add_f64 v[28:29], v[30:31], v[28:29]
	v_fma_f64 v[30:31], v[223:224], s[42:43], v[140:141]
	;; [unrolled: 5-line block ×4, first 2 shown]
	v_add_f64 v[22:23], v[30:31], v[22:23]
	v_fma_f64 v[30:31], v[233:234], s[2:3], -v[150:151]
	s_delay_alu instid0(VALU_DEP_1) | instskip(SKIP_1) | instid1(VALU_DEP_2)
	v_add_f64 v[28:29], v[30:31], v[28:29]
	v_fma_f64 v[30:31], v[245:246], s[30:31], v[152:153]
	v_add_f64 v[112:113], v[16:17], v[28:29]
	v_fma_f64 v[16:17], v[185:186], s[2:3], -v[18:19]
	v_fma_f64 v[18:19], v[197:198], s[38:39], v[40:41]
	s_delay_alu instid0(VALU_DEP_4) | instskip(NEXT) | instid1(VALU_DEP_3)
	v_add_f64 v[114:115], v[30:31], v[22:23]
	v_add_f64 v[16:17], v[16:17], v[36:37]
	s_delay_alu instid0(VALU_DEP_3) | instskip(SKIP_1) | instid1(VALU_DEP_1)
	v_add_f64 v[12:13], v[18:19], v[12:13]
	v_fma_f64 v[18:19], v[191:192], s[38:39], -v[42:43]
	v_add_f64 v[16:17], v[18:19], v[16:17]
	v_fma_f64 v[18:19], v[213:214], s[10:11], v[116:117]
	s_delay_alu instid0(VALU_DEP_1) | instskip(SKIP_1) | instid1(VALU_DEP_1)
	v_add_f64 v[12:13], v[18:19], v[12:13]
	v_fma_f64 v[18:19], v[199:200], s[10:11], -v[118:119]
	v_add_f64 v[16:17], v[18:19], v[16:17]
	v_fma_f64 v[18:19], v[223:224], s[30:31], v[120:121]
	s_delay_alu instid0(VALU_DEP_1) | instskip(SKIP_1) | instid1(VALU_DEP_1)
	v_add_f64 v[12:13], v[18:19], v[12:13]
	v_fma_f64 v[18:19], v[215:216], s[30:31], -v[122:123]
	v_add_f64 v[16:17], v[18:19], v[16:17]
	v_fma_f64 v[18:19], v[229:230], s[18:19], v[124:125]
	v_mul_f64 v[124:125], v[205:206], s[16:17]
	s_delay_alu instid0(VALU_DEP_2) | instskip(SKIP_2) | instid1(VALU_DEP_2)
	v_add_f64 v[12:13], v[18:19], v[12:13]
	v_fma_f64 v[18:19], v[227:228], s[18:19], -v[126:127]
	v_mul_f64 v[126:127], v[251:252], s[16:17]
	v_add_f64 v[16:17], v[18:19], v[16:17]
	v_fma_f64 v[18:19], v[237:238], s[26:27], v[128:129]
	s_delay_alu instid0(VALU_DEP_1) | instskip(SKIP_1) | instid1(VALU_DEP_1)
	v_add_f64 v[12:13], v[18:19], v[12:13]
	v_fma_f64 v[18:19], v[233:234], s[26:27], -v[130:131]
	v_add_f64 v[16:17], v[18:19], v[16:17]
	v_fma_f64 v[18:19], v[245:246], s[22:23], v[132:133]
	s_delay_alu instid0(VALU_DEP_2) | instskip(NEXT) | instid1(VALU_DEP_2)
	v_add_f64 v[116:117], v[14:15], v[16:17]
	v_add_f64 v[118:119], v[18:19], v[12:13]
	v_mul_f64 v[12:13], v[195:196], s[48:49]
	v_mul_f64 v[16:17], v[187:188], s[48:49]
	s_delay_alu instid0(VALU_DEP_2) | instskip(NEXT) | instid1(VALU_DEP_2)
	v_fma_f64 v[14:15], v[189:190], s[42:43], -v[12:13]
	v_fma_f64 v[18:19], v[185:186], s[42:43], v[16:17]
	v_fma_f64 v[12:13], v[189:190], s[42:43], v[12:13]
	s_delay_alu instid0(VALU_DEP_3) | instskip(SKIP_1) | instid1(VALU_DEP_4)
	v_add_f64 v[14:15], v[14:15], v[20:21]
	v_mul_f64 v[20:21], v[209:210], s[28:29]
	v_add_f64 v[18:19], v[18:19], v[32:33]
	s_delay_alu instid0(VALU_DEP_4) | instskip(NEXT) | instid1(VALU_DEP_3)
	v_add_f64 v[12:13], v[12:13], v[26:27]
	v_fma_f64 v[22:23], v[197:198], s[26:27], -v[20:21]
	s_delay_alu instid0(VALU_DEP_1) | instskip(SKIP_1) | instid1(VALU_DEP_1)
	v_add_f64 v[14:15], v[22:23], v[14:15]
	v_mul_f64 v[22:23], v[193:194], s[28:29]
	v_fma_f64 v[24:25], v[191:192], s[26:27], v[22:23]
	s_delay_alu instid0(VALU_DEP_1) | instskip(SKIP_1) | instid1(VALU_DEP_1)
	v_add_f64 v[18:19], v[24:25], v[18:19]
	v_mul_f64 v[24:25], v[219:220], s[8:9]
	v_fma_f64 v[28:29], v[213:214], s[2:3], -v[24:25]
	s_delay_alu instid0(VALU_DEP_1) | instskip(SKIP_1) | instid1(VALU_DEP_1)
	v_add_f64 v[14:15], v[28:29], v[14:15]
	v_mul_f64 v[28:29], v[207:208], s[8:9]
	v_fma_f64 v[30:31], v[199:200], s[2:3], v[28:29]
	s_delay_alu instid0(VALU_DEP_1) | instskip(SKIP_1) | instid1(VALU_DEP_1)
	v_add_f64 v[18:19], v[30:31], v[18:19]
	v_mul_f64 v[30:31], v[235:236], s[20:21]
	;; [unrolled: 8-line block ×4, first 2 shown]
	v_fma_f64 v[42:43], v[237:238], s[30:31], -v[40:41]
	s_delay_alu instid0(VALU_DEP_1) | instskip(SKIP_1) | instid1(VALU_DEP_1)
	v_add_f64 v[14:15], v[42:43], v[14:15]
	v_mul_f64 v[42:43], v[241:242], s[36:37]
	v_fma_f64 v[120:121], v[233:234], s[30:31], v[42:43]
	s_delay_alu instid0(VALU_DEP_1) | instskip(SKIP_1) | instid1(VALU_DEP_1)
	v_add_f64 v[18:19], v[120:121], v[18:19]
	v_fma_f64 v[120:121], v[245:246], s[10:11], -v[124:125]
	v_add_f64 v[122:123], v[120:121], v[14:15]
	v_fma_f64 v[14:15], v[239:240], s[10:11], v[126:127]
	s_delay_alu instid0(VALU_DEP_1)
	v_add_f64 v[120:121], v[14:15], v[18:19]
	v_fma_f64 v[14:15], v[185:186], s[42:43], -v[16:17]
	v_fma_f64 v[16:17], v[197:198], s[26:27], v[20:21]
	v_fma_f64 v[20:21], v[213:214], s[2:3], v[24:25]
	v_fma_f64 v[18:19], v[191:192], s[26:27], -v[22:23]
	v_fma_f64 v[22:23], v[199:200], s[2:3], -v[28:29]
	v_add_f64 v[14:15], v[14:15], v[38:39]
	v_add_f64 v[12:13], v[16:17], v[12:13]
	v_fma_f64 v[16:17], v[223:224], s[18:19], v[30:31]
	s_delay_alu instid0(VALU_DEP_3) | instskip(NEXT) | instid1(VALU_DEP_3)
	v_add_f64 v[14:15], v[18:19], v[14:15]
	v_add_f64 v[12:13], v[20:21], v[12:13]
	v_fma_f64 v[20:21], v[229:230], s[38:39], v[34:35]
	v_fma_f64 v[18:19], v[215:216], s[18:19], -v[32:33]
	s_delay_alu instid0(VALU_DEP_4) | instskip(NEXT) | instid1(VALU_DEP_4)
	v_add_f64 v[14:15], v[22:23], v[14:15]
	v_add_f64 v[12:13], v[16:17], v[12:13]
	v_fma_f64 v[16:17], v[237:238], s[30:31], v[40:41]
	v_fma_f64 v[22:23], v[227:228], s[38:39], -v[36:37]
	s_delay_alu instid0(VALU_DEP_4) | instskip(NEXT) | instid1(VALU_DEP_4)
	;; [unrolled: 5-line block ×3, first 2 shown]
	v_add_f64 v[14:15], v[22:23], v[14:15]
	v_add_f64 v[12:13], v[16:17], v[12:13]
	v_fma_f64 v[22:23], v[239:240], s[10:11], -v[126:127]
	s_delay_alu instid0(VALU_DEP_3) | instskip(NEXT) | instid1(VALU_DEP_3)
	v_add_f64 v[14:15], v[18:19], v[14:15]
	v_add_f64 v[126:127], v[20:21], v[12:13]
	scratch_load_b32 v12, off, off offset:108 ; 4-byte Folded Reload
	v_add_f64 v[124:125], v[22:23], v[14:15]
	s_waitcnt vmcnt(0)
	v_and_b32_e32 v12, 0xffff, v12
	s_delay_alu instid0(VALU_DEP_1)
	v_lshlrev_b32_e32 v12, 4, v12
	ds_store_b128 v12, v[104:107] offset:32
	ds_store_b128 v12, v[108:111] offset:48
	;; [unrolled: 1-line block ×15, first 2 shown]
	ds_store_b128 v12, v[0:3]
	ds_store_b128 v12, v[124:127] offset:256
.LBB0_17:
	s_or_b32 exec_lo, exec_lo, s1
	s_waitcnt lgkmcnt(0)
	s_barrier
	buffer_gl0_inv
	ds_load_b128 v[0:3], v255
	ds_load_b128 v[108:111], v255 offset:2992
	ds_load_b128 v[104:107], v255 offset:5984
	;; [unrolled: 1-line block ×6, first 2 shown]
	s_and_saveexec_b32 s1, s0
	s_cbranch_execz .LBB0_19
; %bb.18:
	ds_load_b128 v[160:163], v255 offset:1904
	ds_load_b128 v[176:179], v255 offset:4896
	;; [unrolled: 1-line block ×7, first 2 shown]
.LBB0_19:
	s_or_b32 exec_lo, exec_lo, s1
	s_clause 0x1
	scratch_load_b128 v[40:43], off, off offset:84
	scratch_load_b128 v[36:39], off, off offset:68
	s_waitcnt lgkmcnt(5)
	v_mul_f64 v[12:13], v[50:51], v[110:111]
	v_mul_f64 v[14:15], v[50:51], v[108:109]
	s_waitcnt lgkmcnt(0)
	v_mul_f64 v[20:21], v[46:47], v[114:115]
	v_mul_f64 v[22:23], v[46:47], v[112:113]
	;; [unrolled: 1-line block ×6, first 2 shown]
	s_mov_b32 s8, 0x37e14327
	s_mov_b32 s16, 0xe976ee23
	;; [unrolled: 1-line block ×20, first 2 shown]
	s_waitcnt vmcnt(0)
	s_barrier
	buffer_gl0_inv
	v_fma_f64 v[12:13], v[48:49], v[108:109], v[12:13]
	v_fma_f64 v[14:15], v[48:49], v[110:111], -v[14:15]
	v_fma_f64 v[20:21], v[44:45], v[112:113], v[20:21]
	v_fma_f64 v[22:23], v[44:45], v[114:115], -v[22:23]
	;; [unrolled: 2-line block ×4, first 2 shown]
	v_add_f64 v[28:29], v[12:13], v[20:21]
	v_add_f64 v[30:31], v[14:15], v[22:23]
	v_mul_f64 v[16:17], v[42:43], v[106:107]
	v_mul_f64 v[18:19], v[42:43], v[104:105]
	;; [unrolled: 1-line block ×4, first 2 shown]
	s_delay_alu instid0(VALU_DEP_4) | instskip(NEXT) | instid1(VALU_DEP_4)
	v_fma_f64 v[16:17], v[40:41], v[104:105], v[16:17]
	v_fma_f64 v[18:19], v[40:41], v[106:107], -v[18:19]
	s_delay_alu instid0(VALU_DEP_4) | instskip(NEXT) | instid1(VALU_DEP_4)
	v_fma_f64 v[24:25], v[36:37], v[100:101], v[24:25]
	v_fma_f64 v[26:27], v[36:37], v[102:103], -v[26:27]
	s_delay_alu instid0(VALU_DEP_2) | instskip(NEXT) | instid1(VALU_DEP_2)
	v_add_f64 v[32:33], v[16:17], v[24:25]
	v_add_f64 v[34:35], v[18:19], v[26:27]
	v_add_f64 v[16:17], v[16:17], -v[24:25]
	v_add_f64 v[18:19], v[18:19], -v[26:27]
	v_add_f64 v[24:25], v[8:9], v[4:5]
	v_add_f64 v[26:27], v[10:11], v[6:7]
	v_add_f64 v[4:5], v[4:5], -v[8:9]
	v_add_f64 v[6:7], v[6:7], -v[10:11]
	;; [unrolled: 1-line block ×4, first 2 shown]
	v_add_f64 v[12:13], v[32:33], v[28:29]
	v_add_f64 v[14:15], v[34:35], v[30:31]
	v_add_f64 v[20:21], v[28:29], -v[24:25]
	v_add_f64 v[22:23], v[30:31], -v[26:27]
	;; [unrolled: 1-line block ×6, first 2 shown]
	v_add_f64 v[16:17], v[4:5], v[16:17]
	v_add_f64 v[18:19], v[6:7], v[18:19]
	v_add_f64 v[4:5], v[8:9], -v[4:5]
	v_add_f64 v[6:7], v[10:11], -v[6:7]
	;; [unrolled: 1-line block ×4, first 2 shown]
	v_add_f64 v[12:13], v[24:25], v[12:13]
	v_add_f64 v[14:15], v[26:27], v[14:15]
	v_add_f64 v[24:25], v[24:25], -v[32:33]
	v_add_f64 v[26:27], v[26:27], -v[34:35]
	v_mul_f64 v[20:21], v[20:21], s[8:9]
	v_mul_f64 v[22:23], v[22:23], s[8:9]
	;; [unrolled: 1-line block ×6, first 2 shown]
	v_add_f64 v[8:9], v[16:17], v[8:9]
	v_add_f64 v[10:11], v[18:19], v[10:11]
	;; [unrolled: 1-line block ×4, first 2 shown]
	v_mul_f64 v[32:33], v[24:25], s[20:21]
	v_mul_f64 v[34:35], v[26:27], s[20:21]
	v_fma_f64 v[16:17], v[24:25], s[20:21], v[20:21]
	v_fma_f64 v[18:19], v[26:27], s[20:21], v[22:23]
	;; [unrolled: 1-line block ×4, first 2 shown]
	v_fma_f64 v[4:5], v[4:5], s[26:27], -v[44:45]
	v_fma_f64 v[6:7], v[6:7], s[26:27], -v[46:47]
	;; [unrolled: 1-line block ×6, first 2 shown]
	v_fma_f64 v[12:13], v[12:13], s[10:11], v[0:1]
	v_fma_f64 v[14:15], v[14:15], s[10:11], v[2:3]
	v_fma_f64 v[28:29], v[28:29], s[18:19], -v[32:33]
	v_fma_f64 v[30:31], v[30:31], s[18:19], -v[34:35]
	v_fma_f64 v[24:25], v[8:9], s[28:29], v[24:25]
	v_fma_f64 v[26:27], v[10:11], s[28:29], v[26:27]
	;; [unrolled: 1-line block ×6, first 2 shown]
	v_add_f64 v[16:17], v[16:17], v[12:13]
	v_add_f64 v[18:19], v[18:19], v[14:15]
	;; [unrolled: 1-line block ×7, first 2 shown]
	v_add_f64 v[6:7], v[18:19], -v[24:25]
	v_add_f64 v[8:9], v[44:45], v[20:21]
	v_add_f64 v[10:11], v[22:23], -v[46:47]
	v_add_f64 v[36:37], v[12:13], -v[34:35]
	v_add_f64 v[38:39], v[32:33], v[14:15]
	v_add_f64 v[40:41], v[34:35], v[12:13]
	v_add_f64 v[42:43], v[14:15], -v[32:33]
	v_add_f64 v[44:45], v[20:21], -v[44:45]
	v_add_f64 v[46:47], v[46:47], v[22:23]
	v_add_f64 v[48:49], v[16:17], -v[26:27]
	v_add_f64 v[50:51], v[24:25], v[18:19]
	ds_store_b128 v184, v[0:3]
	ds_store_b128 v184, v[4:7] offset:272
	ds_store_b128 v184, v[8:11] offset:544
	;; [unrolled: 1-line block ×6, first 2 shown]
	s_and_saveexec_b32 s1, s0
	s_cbranch_execz .LBB0_21
; %bb.20:
	s_clause 0x4
	scratch_load_b128 v[32:35], off, off offset:144
	scratch_load_b128 v[38:41], off, off offset:176
	;; [unrolled: 1-line block ×5, first 2 shown]
	s_waitcnt vmcnt(4)
	v_mul_f64 v[0:1], v[34:35], v[156:157]
	v_mul_f64 v[10:11], v[34:35], v[158:159]
	scratch_load_b128 v[34:37], off, off offset:160 ; 16-byte Folded Reload
	s_waitcnt vmcnt(3)
	v_mul_f64 v[2:3], v[30:31], v[176:177]
	s_waitcnt vmcnt(1)
	v_mul_f64 v[4:5], v[44:45], v[164:165]
	v_mul_f64 v[6:7], v[26:27], v[180:181]
	;; [unrolled: 1-line block ×7, first 2 shown]
	v_fma_f64 v[0:1], v[32:33], v[158:159], -v[0:1]
	v_fma_f64 v[10:11], v[32:33], v[156:157], v[10:11]
	v_fma_f64 v[2:3], v[28:29], v[178:179], -v[2:3]
	v_fma_f64 v[4:5], v[42:43], v[166:167], -v[4:5]
	;; [unrolled: 1-line block ×3, first 2 shown]
	v_fma_f64 v[8:9], v[28:29], v[176:177], v[8:9]
	v_fma_f64 v[12:13], v[24:25], v[180:181], v[12:13]
	;; [unrolled: 1-line block ×4, first 2 shown]
	v_fma_f64 v[20:21], v[38:39], v[174:175], -v[20:21]
	v_add_f64 v[24:25], v[2:3], v[0:1]
	v_add_f64 v[26:27], v[6:7], v[4:5]
	;; [unrolled: 1-line block ×3, first 2 shown]
	v_add_f64 v[8:9], v[8:9], -v[10:11]
	v_add_f64 v[30:31], v[12:13], v[14:15]
	v_add_f64 v[12:13], v[12:13], -v[14:15]
	v_add_f64 v[4:5], v[6:7], -v[4:5]
	;; [unrolled: 1-line block ×3, first 2 shown]
	v_add_f64 v[10:11], v[26:27], v[24:25]
	v_add_f64 v[0:1], v[30:31], v[28:29]
	s_delay_alu instid0(VALU_DEP_3) | instskip(NEXT) | instid1(VALU_DEP_1)
	v_add_f64 v[38:39], v[4:5], -v[6:7]
	v_mul_f64 v[46:47], v[38:39], s[2:3]
	s_waitcnt vmcnt(0)
	v_mul_f64 v[16:17], v[36:37], v[170:171]
	v_mul_f64 v[22:23], v[36:37], v[168:169]
	s_delay_alu instid0(VALU_DEP_2) | instskip(NEXT) | instid1(VALU_DEP_2)
	v_fma_f64 v[16:17], v[34:35], v[168:169], v[16:17]
	v_fma_f64 v[22:23], v[34:35], v[170:171], -v[22:23]
	v_add_f64 v[34:35], v[12:13], -v[8:9]
	s_delay_alu instid0(VALU_DEP_3) | instskip(NEXT) | instid1(VALU_DEP_3)
	v_add_f64 v[32:33], v[16:17], -v[18:19]
	v_add_f64 v[14:15], v[20:21], v[22:23]
	v_add_f64 v[16:17], v[18:19], v[16:17]
	v_add_f64 v[18:19], v[22:23], -v[20:21]
	v_mul_f64 v[44:45], v[34:35], s[2:3]
	v_add_f64 v[2:3], v[32:33], -v[12:13]
	v_add_f64 v[20:21], v[24:25], -v[14:15]
	;; [unrolled: 1-line block ×3, first 2 shown]
	v_add_f64 v[10:11], v[14:15], v[10:11]
	v_add_f64 v[14:15], v[14:15], -v[26:27]
	v_add_f64 v[36:37], v[18:19], -v[4:5]
	v_add_f64 v[40:41], v[16:17], v[0:1]
	v_add_f64 v[16:17], v[16:17], -v[30:31]
	v_add_f64 v[42:43], v[8:9], -v[32:33]
	v_add_f64 v[12:13], v[32:33], v[12:13]
	v_add_f64 v[4:5], v[18:19], v[4:5]
	v_add_f64 v[18:19], v[6:7], -v[18:19]
	v_add_f64 v[24:25], v[26:27], -v[24:25]
	;; [unrolled: 1-line block ×3, first 2 shown]
	v_mul_f64 v[32:33], v[2:3], s[16:17]
	v_mul_f64 v[20:21], v[20:21], s[8:9]
	;; [unrolled: 1-line block ×3, first 2 shown]
	v_add_f64 v[2:3], v[162:163], v[10:11]
	v_mul_f64 v[26:27], v[14:15], s[20:21]
	v_mul_f64 v[36:37], v[36:37], s[16:17]
	v_add_f64 v[0:1], v[160:161], v[40:41]
	v_mul_f64 v[30:31], v[16:17], s[20:21]
	v_add_f64 v[8:9], v[12:13], v[8:9]
	v_add_f64 v[4:5], v[4:5], v[6:7]
	v_fma_f64 v[6:7], v[42:43], s[24:25], v[32:33]
	v_fma_f64 v[12:13], v[14:15], s[20:21], v[20:21]
	;; [unrolled: 1-line block ×3, first 2 shown]
	v_fma_f64 v[16:17], v[42:43], s[26:27], -v[44:45]
	v_fma_f64 v[32:33], v[34:35], s[2:3], -v[32:33]
	v_fma_f64 v[10:11], v[10:11], s[10:11], v[2:3]
	v_fma_f64 v[20:21], v[24:25], s[22:23], -v[20:21]
	v_fma_f64 v[24:25], v[24:25], s[18:19], -v[26:27]
	v_fma_f64 v[26:27], v[18:19], s[24:25], v[36:37]
	;; [unrolled: 3-line block ×4, first 2 shown]
	v_fma_f64 v[16:17], v[8:9], s[28:29], v[16:17]
	v_fma_f64 v[8:9], v[8:9], s[28:29], v[32:33]
	v_add_f64 v[12:13], v[12:13], v[10:11]
	v_add_f64 v[20:21], v[20:21], v[10:11]
	;; [unrolled: 1-line block ×3, first 2 shown]
	v_fma_f64 v[32:33], v[4:5], s[28:29], v[26:27]
	v_fma_f64 v[38:39], v[4:5], s[28:29], v[18:19]
	;; [unrolled: 1-line block ×3, first 2 shown]
	v_add_f64 v[34:35], v[14:15], v[36:37]
	v_add_f64 v[40:41], v[22:23], v[36:37]
	;; [unrolled: 1-line block ×5, first 2 shown]
	v_add_f64 v[22:23], v[20:21], -v[16:17]
	v_add_f64 v[26:27], v[12:13], -v[30:31]
	;; [unrolled: 1-line block ×3, first 2 shown]
	v_add_f64 v[18:19], v[8:9], v[24:25]
	v_add_f64 v[24:25], v[32:33], v[34:35]
	;; [unrolled: 1-line block ×3, first 2 shown]
	v_add_f64 v[16:17], v[28:29], -v[4:5]
	v_add_f64 v[12:13], v[4:5], v[28:29]
	s_clause 0x1
	scratch_load_b32 v28, off, off offset:100
	scratch_load_b32 v29, off, off offset:60
	v_add_f64 v[8:9], v[40:41], -v[38:39]
	v_add_f64 v[4:5], v[34:35], -v[32:33]
	s_waitcnt vmcnt(1)
	v_mul_u32_u24_e32 v28, 0x77, v28
	s_waitcnt vmcnt(0)
	s_delay_alu instid0(VALU_DEP_1)
	v_add_lshl_u32 v28, v28, v29, 4
	ds_store_b128 v28, v[0:3]
	ds_store_b128 v28, v[24:27] offset:272
	ds_store_b128 v28, v[20:23] offset:544
	ds_store_b128 v28, v[16:19] offset:816
	ds_store_b128 v28, v[12:15] offset:1088
	ds_store_b128 v28, v[8:11] offset:1360
	ds_store_b128 v28, v[4:7] offset:1632
.LBB0_21:
	s_or_b32 exec_lo, exec_lo, s1
	s_waitcnt lgkmcnt(0)
	s_barrier
	buffer_gl0_inv
	ds_load_b128 v[0:3], v255 offset:1904
	ds_load_b128 v[8:11], v255 offset:19040
	;; [unrolled: 1-line block ×10, first 2 shown]
	s_mov_b32 s0, 0xf8bb580b
	s_mov_b32 s2, 0x8764f0ba
	;; [unrolled: 1-line block ×14, first 2 shown]
	s_waitcnt lgkmcnt(8)
	v_mul_f64 v[44:45], v[62:63], v[8:9]
	s_waitcnt lgkmcnt(7)
	v_mul_f64 v[46:47], v[74:75], v[12:13]
	v_mul_f64 v[4:5], v[70:71], v[2:3]
	;; [unrolled: 1-line block ×3, first 2 shown]
	s_waitcnt lgkmcnt(6)
	v_mul_f64 v[48:49], v[66:67], v[16:17]
	v_mul_f64 v[50:51], v[74:75], v[14:15]
	s_waitcnt lgkmcnt(5)
	v_mul_f64 v[56:57], v[82:83], v[20:21]
	s_waitcnt lgkmcnt(4)
	v_mul_f64 v[58:59], v[90:91], v[24:25]
	v_mul_f64 v[66:67], v[66:67], v[18:19]
	;; [unrolled: 1-line block ×4, first 2 shown]
	s_waitcnt lgkmcnt(3)
	v_mul_f64 v[70:71], v[78:79], v[30:31]
	v_mul_f64 v[78:79], v[78:79], v[28:29]
	s_waitcnt lgkmcnt(2)
	v_mul_f64 v[90:91], v[98:99], v[34:35]
	v_mul_f64 v[98:99], v[98:99], v[32:33]
	s_mov_b32 s27, 0xbfe82f19
	s_mov_b32 s29, 0xbfe4f49e
	s_mov_b32 s34, 0xfd768dbf
	s_mov_b32 s36, 0x9bcd5057
	s_mov_b32 s35, 0xbfd207e7
	s_mov_b32 s37, 0xbfeeb42a
	s_mov_b32 s9, 0x3fe14ced
	s_mov_b32 s19, 0x3fed1bb4
	s_mov_b32 s8, s0
	s_mov_b32 s18, s10
	s_mov_b32 s25, 0x3fefac9e
	s_mov_b32 s39, 0x3fd207e7
	s_mov_b32 s24, s20
	s_mov_b32 s38, s34
	s_mov_b32 s31, 0x3fe82f19
	s_mov_b32 s30, s26
	v_fma_f64 v[52:53], v[68:69], v[0:1], v[4:5]
	v_fma_f64 v[54:55], v[68:69], v[2:3], -v[6:7]
	ds_load_b128 v[0:3], v255
	v_mul_f64 v[68:69], v[82:83], v[22:23]
	s_waitcnt lgkmcnt(2)
	v_mul_f64 v[82:83], v[86:87], v[38:39]
	s_waitcnt lgkmcnt(1)
	v_mul_f64 v[100:101], v[94:95], v[42:43]
	v_mul_f64 v[94:95], v[94:95], v[40:41]
	v_fma_f64 v[4:5], v[60:61], v[10:11], -v[44:45]
	v_fma_f64 v[44:45], v[72:73], v[14:15], -v[46:47]
	;; [unrolled: 1-line block ×3, first 2 shown]
	v_fma_f64 v[18:19], v[72:73], v[12:13], v[50:51]
	v_mul_f64 v[86:87], v[86:87], v[36:37]
	v_fma_f64 v[22:23], v[80:81], v[22:23], -v[56:57]
	v_fma_f64 v[12:13], v[88:89], v[26:27], -v[58:59]
	v_fma_f64 v[14:15], v[88:89], v[24:25], v[74:75]
	v_fma_f64 v[8:9], v[60:61], v[8:9], v[62:63]
	;; [unrolled: 1-line block ×4, first 2 shown]
	v_fma_f64 v[24:25], v[76:77], v[30:31], -v[78:79]
	v_fma_f64 v[30:31], v[96:97], v[32:33], v[90:91]
	v_fma_f64 v[32:33], v[96:97], v[34:35], -v[98:99]
	s_waitcnt lgkmcnt(0)
	v_add_f64 v[46:47], v[0:1], v[52:53]
	v_add_f64 v[48:49], v[2:3], v[54:55]
	v_fma_f64 v[20:21], v[80:81], v[20:21], v[68:69]
	v_fma_f64 v[26:27], v[84:85], v[36:37], v[82:83]
	v_fma_f64 v[34:35], v[92:93], v[40:41], v[100:101]
	v_fma_f64 v[36:37], v[92:93], v[42:43], -v[94:95]
	v_add_f64 v[40:41], v[54:55], v[4:5]
	v_add_f64 v[42:43], v[44:45], -v[6:7]
	v_add_f64 v[50:51], v[44:45], v[6:7]
	v_fma_f64 v[28:29], v[84:85], v[38:39], -v[86:87]
	v_add_f64 v[38:39], v[54:55], -v[4:5]
	v_add_f64 v[54:55], v[22:23], v[12:13]
	v_add_f64 v[56:57], v[52:53], v[8:9]
	v_add_f64 v[52:53], v[52:53], -v[8:9]
	v_add_f64 v[58:59], v[18:19], v[10:11]
	v_add_f64 v[46:47], v[46:47], v[18:19]
	;; [unrolled: 1-line block ×3, first 2 shown]
	v_add_f64 v[48:49], v[22:23], -v[12:13]
	v_add_f64 v[60:61], v[20:21], v[14:15]
	v_add_f64 v[62:63], v[20:21], -v[14:15]
	v_add_f64 v[64:65], v[16:17], v[26:27]
	v_add_f64 v[74:75], v[32:33], v[36:37]
	v_mul_f64 v[82:83], v[40:41], s[2:3]
	v_mul_f64 v[86:87], v[40:41], s[16:17]
	;; [unrolled: 1-line block ×10, first 2 shown]
	v_add_f64 v[70:71], v[16:17], -v[26:27]
	v_add_f64 v[18:19], v[18:19], -v[10:11]
	v_add_f64 v[66:67], v[24:25], v[28:29]
	v_add_f64 v[68:69], v[24:25], -v[28:29]
	v_mul_f64 v[96:97], v[42:43], s[10:11]
	v_mul_f64 v[98:99], v[50:51], s[16:17]
	;; [unrolled: 1-line block ×10, first 2 shown]
	v_add_f64 v[72:73], v[30:31], v[34:35]
	v_add_f64 v[76:77], v[30:31], -v[34:35]
	v_add_f64 v[78:79], v[32:33], -v[36:37]
	v_mul_f64 v[54:55], v[54:55], s[28:29]
	v_add_f64 v[20:21], v[46:47], v[20:21]
	v_add_f64 v[22:23], v[44:45], v[22:23]
	v_mul_f64 v[44:45], v[50:51], s[28:29]
	v_mul_f64 v[46:47], v[42:43], s[38:39]
	;; [unrolled: 1-line block ×8, first 2 shown]
	v_fma_f64 v[158:159], v[52:53], s[18:19], v[86:87]
	v_fma_f64 v[162:163], v[52:53], s[24:25], v[90:91]
	;; [unrolled: 1-line block ×4, first 2 shown]
	v_fma_f64 v[84:85], v[56:57], s[16:17], -v[84:85]
	v_fma_f64 v[160:161], v[56:57], s[22:23], v[88:89]
	v_fma_f64 v[88:89], v[56:57], s[22:23], -v[88:89]
	v_fma_f64 v[164:165], v[56:57], s[28:29], v[92:93]
	;; [unrolled: 2-line block ×3, first 2 shown]
	v_fma_f64 v[170:171], v[52:53], s[38:39], v[40:41]
	v_fma_f64 v[38:39], v[56:57], s[36:37], -v[38:39]
	v_fma_f64 v[40:41], v[52:53], s[34:35], v[40:41]
	v_fma_f64 v[94:95], v[52:53], s[26:27], v[94:95]
	;; [unrolled: 1-line block ×4, first 2 shown]
	v_mul_f64 v[108:109], v[48:49], s[20:21]
	v_mul_f64 v[112:113], v[48:49], s[38:39]
	v_fma_f64 v[172:173], v[58:59], s[28:29], v[100:101]
	v_mul_f64 v[116:117], v[48:49], s[18:19]
	v_fma_f64 v[100:101], v[58:59], s[28:29], -v[100:101]
	v_fma_f64 v[178:179], v[18:19], s[34:35], v[102:103]
	v_mul_f64 v[120:121], v[48:49], s[0:1]
	v_fma_f64 v[180:181], v[58:59], s[22:23], v[104:105]
	v_fma_f64 v[182:183], v[18:19], s[20:21], v[106:107]
	v_mul_f64 v[48:49], v[48:49], s[26:27]
	v_fma_f64 v[104:105], v[58:59], s[22:23], -v[104:105]
	v_fma_f64 v[102:103], v[18:19], s[38:39], v[102:103]
	v_add_f64 v[16:17], v[20:21], v[16:17]
	v_add_f64 v[20:21], v[22:23], v[24:25]
	v_mul_f64 v[22:23], v[74:75], s[22:23]
	v_fma_f64 v[24:25], v[56:57], s[2:3], v[80:81]
	v_fma_f64 v[74:75], v[52:53], s[8:9], v[82:83]
	v_fma_f64 v[80:81], v[56:57], s[2:3], -v[80:81]
	v_fma_f64 v[82:83], v[52:53], s[0:1], v[82:83]
	v_fma_f64 v[52:53], v[58:59], s[16:17], v[96:97]
	;; [unrolled: 1-line block ×3, first 2 shown]
	v_fma_f64 v[96:97], v[58:59], s[16:17], -v[96:97]
	v_fma_f64 v[98:99], v[18:19], s[10:11], v[98:99]
	v_fma_f64 v[174:175], v[18:19], s[30:31], v[44:45]
	v_add_f64 v[158:159], v[2:3], v[158:159]
	v_add_f64 v[156:157], v[0:1], v[156:157]
	v_fma_f64 v[176:177], v[58:59], s[36:37], v[46:47]
	v_add_f64 v[84:85], v[0:1], v[84:85]
	v_add_f64 v[160:161], v[0:1], v[160:161]
	v_add_f64 v[162:163], v[2:3], v[162:163]
	v_fma_f64 v[46:47], v[58:59], s[36:37], -v[46:47]
	v_add_f64 v[88:89], v[0:1], v[88:89]
	v_add_f64 v[164:165], v[0:1], v[164:165]
	v_add_f64 v[166:167], v[2:3], v[166:167]
	v_add_f64 v[92:93], v[0:1], v[92:93]
	v_add_f64 v[168:169], v[0:1], v[168:169]
	v_add_f64 v[170:171], v[2:3], v[170:171]
	v_fma_f64 v[44:45], v[18:19], s[26:27], v[44:45]
	v_add_f64 v[90:91], v[2:3], v[90:91]
	v_add_f64 v[86:87], v[2:3], v[86:87]
	v_mul_f64 v[124:125], v[68:69], s[26:27]
	v_mul_f64 v[126:127], v[66:67], s[28:29]
	;; [unrolled: 1-line block ×4, first 2 shown]
	v_fma_f64 v[184:185], v[60:61], s[36:37], v[112:113]
	v_fma_f64 v[186:187], v[62:63], s[34:35], v[114:115]
	v_mul_f64 v[132:133], v[68:69], s[0:1]
	v_mul_f64 v[134:135], v[66:67], s[2:3]
	v_fma_f64 v[188:189], v[60:61], s[16:17], v[116:117]
	v_fma_f64 v[190:191], v[62:63], s[10:11], v[118:119]
	v_add_f64 v[16:17], v[16:17], v[30:31]
	v_add_f64 v[20:21], v[20:21], v[32:33]
	v_fma_f64 v[30:31], v[18:19], s[24:25], v[106:107]
	v_add_f64 v[24:25], v[0:1], v[24:25]
	v_fma_f64 v[32:33], v[58:59], s[2:3], v[42:43]
	v_add_f64 v[80:81], v[0:1], v[80:81]
	v_add_f64 v[82:83], v[2:3], v[82:83]
	v_fma_f64 v[106:107], v[18:19], s[0:1], v[50:51]
	v_fma_f64 v[42:43], v[58:59], s[2:3], -v[42:43]
	v_fma_f64 v[18:19], v[18:19], s[8:9], v[50:51]
	v_add_f64 v[0:1], v[0:1], v[38:39]
	v_add_f64 v[38:39], v[2:3], v[40:41]
	;; [unrolled: 1-line block ×4, first 2 shown]
	v_fma_f64 v[50:51], v[60:61], s[22:23], v[108:109]
	v_fma_f64 v[58:59], v[62:63], s[24:25], v[110:111]
	v_fma_f64 v[108:109], v[60:61], s[22:23], -v[108:109]
	v_fma_f64 v[110:111], v[62:63], s[20:21], v[110:111]
	v_add_f64 v[84:85], v[100:101], v[84:85]
	v_add_f64 v[100:101], v[178:179], v[162:163]
	v_mul_f64 v[136:137], v[68:69], s[34:35]
	v_mul_f64 v[138:139], v[66:67], s[36:37]
	v_add_f64 v[46:47], v[46:47], v[88:89]
	v_add_f64 v[88:89], v[180:181], v[164:165]
	v_mul_f64 v[68:69], v[68:69], s[18:19]
	v_mul_f64 v[66:67], v[66:67], s[16:17]
	v_fma_f64 v[116:117], v[60:61], s[16:17], -v[116:117]
	v_fma_f64 v[74:75], v[60:61], s[2:3], -v[120:121]
	v_fma_f64 v[94:95], v[62:63], s[0:1], v[122:123]
	v_add_f64 v[92:93], v[104:105], v[92:93]
	v_fma_f64 v[118:119], v[62:63], s[18:19], v[118:119]
	v_fma_f64 v[112:113], v[60:61], s[36:37], -v[112:113]
	v_fma_f64 v[114:115], v[62:63], s[38:39], v[114:115]
	v_mul_f64 v[144:145], v[78:79], s[8:9]
	v_fma_f64 v[192:193], v[64:65], s[22:23], v[128:129]
	v_fma_f64 v[194:195], v[70:71], s[20:21], v[130:131]
	v_mul_f64 v[140:141], v[78:79], s[34:35]
	v_mul_f64 v[148:149], v[78:79], s[26:27]
	v_add_f64 v[16:17], v[16:17], v[34:35]
	v_add_f64 v[20:21], v[20:21], v[36:37]
	v_fma_f64 v[34:35], v[60:61], s[2:3], v[120:121]
	v_add_f64 v[24:25], v[52:53], v[24:25]
	v_fma_f64 v[36:37], v[62:63], s[8:9], v[122:123]
	v_add_f64 v[52:53], v[96:97], v[80:81]
	v_add_f64 v[80:81], v[98:99], v[82:83]
	;; [unrolled: 1-line block ×6, first 2 shown]
	v_fma_f64 v[120:121], v[60:61], s[28:29], v[48:49]
	v_fma_f64 v[122:123], v[62:63], s[30:31], v[54:55]
	v_add_f64 v[32:33], v[32:33], v[168:169]
	v_add_f64 v[104:105], v[106:107], v[170:171]
	v_fma_f64 v[48:49], v[60:61], s[28:29], -v[48:49]
	v_fma_f64 v[54:55], v[62:63], s[26:27], v[54:55]
	v_add_f64 v[0:1], v[42:43], v[0:1]
	v_add_f64 v[18:19], v[18:19], v[38:39]
	;; [unrolled: 1-line block ×6, first 2 shown]
	v_fma_f64 v[60:61], v[64:65], s[28:29], v[124:125]
	v_fma_f64 v[62:63], v[70:71], s[30:31], v[126:127]
	v_fma_f64 v[124:125], v[64:65], s[28:29], -v[124:125]
	v_fma_f64 v[126:127], v[70:71], s[26:27], v[126:127]
	v_mul_f64 v[152:153], v[78:79], s[18:19]
	v_fma_f64 v[56:57], v[64:65], s[36:37], v[136:137]
	v_fma_f64 v[86:87], v[70:71], s[38:39], v[138:139]
	v_mul_f64 v[78:79], v[78:79], s[20:21]
	v_fma_f64 v[42:43], v[64:65], s[2:3], -v[132:133]
	v_fma_f64 v[90:91], v[64:65], s[36:37], -v[136:137]
	v_fma_f64 v[106:107], v[64:65], s[16:17], v[68:69]
	v_add_f64 v[46:47], v[116:117], v[46:47]
	v_add_f64 v[74:75], v[74:75], v[92:93]
	v_fma_f64 v[128:129], v[64:65], s[22:23], -v[128:129]
	v_fma_f64 v[102:103], v[70:71], s[34:35], v[138:139]
	v_add_f64 v[16:17], v[16:17], v[26:27]
	v_add_f64 v[20:21], v[20:21], v[28:29]
	v_fma_f64 v[26:27], v[64:65], s[2:3], v[132:133]
	v_add_f64 v[24:25], v[50:51], v[24:25]
	v_fma_f64 v[28:29], v[70:71], s[8:9], v[134:135]
	v_add_f64 v[50:51], v[108:109], v[52:53]
	v_add_f64 v[52:53], v[110:111], v[80:81]
	;; [unrolled: 1-line block ×8, first 2 shown]
	v_fma_f64 v[132:133], v[70:71], s[10:11], v[66:67]
	v_add_f64 v[32:33], v[120:121], v[32:33]
	v_add_f64 v[88:89], v[122:123], v[104:105]
	v_fma_f64 v[64:65], v[64:65], s[16:17], -v[68:69]
	v_fma_f64 v[66:67], v[70:71], s[18:19], v[66:67]
	v_add_f64 v[0:1], v[48:49], v[0:1]
	v_add_f64 v[18:19], v[54:55], v[18:19]
	;; [unrolled: 1-line block ×3, first 2 shown]
	v_fma_f64 v[44:45], v[70:71], s[0:1], v[134:135]
	v_add_f64 v[38:39], v[118:119], v[38:39]
	v_fma_f64 v[130:131], v[70:71], s[24:25], v[130:131]
	v_add_f64 v[84:85], v[112:113], v[84:85]
	v_add_f64 v[40:41], v[114:115], v[40:41]
	;; [unrolled: 1-line block ×3, first 2 shown]
	v_fma_f64 v[70:71], v[76:77], s[38:39], v[142:143]
	v_fma_f64 v[136:137], v[76:77], s[34:35], v[142:143]
	;; [unrolled: 1-line block ×9, first 2 shown]
	v_fma_f64 v[134:135], v[72:73], s[36:37], -v[140:141]
	v_fma_f64 v[58:59], v[72:73], s[28:29], v[148:149]
	v_add_f64 v[14:15], v[16:17], v[14:15]
	v_add_f64 v[12:13], v[20:21], v[12:13]
	v_fma_f64 v[16:17], v[72:73], s[2:3], v[144:145]
	v_fma_f64 v[20:21], v[76:77], s[0:1], v[146:147]
	;; [unrolled: 1-line block ×3, first 2 shown]
	v_add_f64 v[22:23], v[60:61], v[24:25]
	v_add_f64 v[24:25], v[124:125], v[50:51]
	;; [unrolled: 1-line block ×7, first 2 shown]
	v_fma_f64 v[104:105], v[72:73], s[16:17], v[152:153]
	v_add_f64 v[34:35], v[56:57], v[34:35]
	v_add_f64 v[36:37], v[86:87], v[36:37]
	v_fma_f64 v[114:115], v[72:73], s[22:23], v[78:79]
	v_add_f64 v[42:43], v[42:43], v[46:47]
	v_add_f64 v[46:47], v[90:91], v[74:75]
	;; [unrolled: 1-line block ×4, first 2 shown]
	v_fma_f64 v[48:49], v[72:73], s[2:3], -v[144:145]
	v_fma_f64 v[94:95], v[72:73], s[28:29], -v[148:149]
	;; [unrolled: 1-line block ×4, first 2 shown]
	v_add_f64 v[64:65], v[64:65], v[0:1]
	v_add_f64 v[66:67], v[66:67], v[18:19]
	;; [unrolled: 1-line block ×31, first 2 shown]
	ds_store_b128 v255, v[14:17] offset:3808
	ds_store_b128 v255, v[22:25] offset:5712
	;; [unrolled: 1-line block ×9, first 2 shown]
	ds_store_b128 v255, v[6:9]
	ds_store_b128 v255, v[0:3] offset:1904
	s_waitcnt lgkmcnt(0)
	s_barrier
	buffer_gl0_inv
	s_and_b32 exec_lo, exec_lo, vcc_lo
	s_cbranch_execz .LBB0_23
; %bb.22:
	global_load_b128 v[0:3], v255, s[12:13]
	ds_load_b128 v[4:7], v255
	ds_load_b128 v[8:11], v255 offset:1232
	ds_load_b128 v[12:15], v255 offset:19712
	s_mov_b32 s0, 0xd336f476
	s_mov_b32 s1, 0x3f490868
	s_mul_i32 s2, s5, 0x4d0
	s_mul_hi_u32 s3, s4, 0x4d0
	scratch_load_b32 v20, off, off offset:8 ; 4-byte Folded Reload
	s_add_i32 s3, s3, s2
	v_add_co_u32 v22, s2, s12, v255
	s_delay_alu instid0(VALU_DEP_1) | instskip(SKIP_3) | instid1(VALU_DEP_2)
	v_add_co_ci_u32_e64 v23, null, s13, 0, s2
	s_waitcnt vmcnt(1) lgkmcnt(2)
	v_mul_f64 v[16:17], v[6:7], v[2:3]
	v_mul_f64 v[2:3], v[4:5], v[2:3]
	v_fma_f64 v[4:5], v[4:5], v[0:1], v[16:17]
	s_delay_alu instid0(VALU_DEP_2)
	v_fma_f64 v[2:3], v[0:1], v[6:7], -v[2:3]
	scratch_load_b64 v[0:1], off, off       ; 8-byte Folded Reload
	s_waitcnt vmcnt(1)
	v_mad_u64_u32 v[16:17], null, s4, v20, 0
	s_mulk_i32 s4, 0x4d0
	v_mul_f64 v[2:3], v[2:3], s[0:1]
	s_waitcnt vmcnt(0)
	v_mov_b32_e32 v19, v0
	v_mul_f64 v[0:1], v[4:5], s[0:1]
	s_delay_alu instid0(VALU_DEP_4) | instskip(NEXT) | instid1(VALU_DEP_3)
	v_mov_b32_e32 v5, v17
	v_mad_u64_u32 v[6:7], null, s6, v19, 0
	s_delay_alu instid0(VALU_DEP_1) | instskip(NEXT) | instid1(VALU_DEP_1)
	v_mov_b32_e32 v4, v7
	v_mad_u64_u32 v[17:18], null, s7, v19, v[4:5]
	s_delay_alu instid0(VALU_DEP_3) | instskip(NEXT) | instid1(VALU_DEP_2)
	v_mad_u64_u32 v[18:19], null, s5, v20, v[5:6]
	v_mov_b32_e32 v7, v17
	s_delay_alu instid0(VALU_DEP_2) | instskip(NEXT) | instid1(VALU_DEP_2)
	v_mov_b32_e32 v17, v18
	v_lshlrev_b64 v[4:5], 4, v[6:7]
	s_delay_alu instid0(VALU_DEP_2) | instskip(NEXT) | instid1(VALU_DEP_2)
	v_lshlrev_b64 v[6:7], 4, v[16:17]
	v_add_co_u32 v4, vcc_lo, s14, v4
	s_delay_alu instid0(VALU_DEP_3) | instskip(NEXT) | instid1(VALU_DEP_2)
	v_add_co_ci_u32_e32 v5, vcc_lo, s15, v5, vcc_lo
	v_add_co_u32 v4, vcc_lo, v4, v6
	s_delay_alu instid0(VALU_DEP_2) | instskip(NEXT) | instid1(VALU_DEP_2)
	v_add_co_ci_u32_e32 v5, vcc_lo, v5, v7, vcc_lo
	v_add_co_u32 v16, vcc_lo, v4, s4
	global_store_b128 v[4:5], v[0:3], off
	global_load_b128 v[0:3], v255, s[12:13] offset:1232
	v_add_co_ci_u32_e32 v17, vcc_lo, s3, v5, vcc_lo
	s_waitcnt vmcnt(0) lgkmcnt(1)
	v_mul_f64 v[6:7], v[10:11], v[2:3]
	v_mul_f64 v[2:3], v[8:9], v[2:3]
	s_delay_alu instid0(VALU_DEP_2) | instskip(NEXT) | instid1(VALU_DEP_2)
	v_fma_f64 v[6:7], v[8:9], v[0:1], v[6:7]
	v_fma_f64 v[2:3], v[0:1], v[10:11], -v[2:3]
	s_delay_alu instid0(VALU_DEP_2) | instskip(NEXT) | instid1(VALU_DEP_2)
	v_mul_f64 v[0:1], v[6:7], s[0:1]
	v_mul_f64 v[2:3], v[2:3], s[0:1]
	global_store_b128 v[16:17], v[0:3], off
	global_load_b128 v[0:3], v255, s[12:13] offset:2464
	ds_load_b128 v[4:7], v255 offset:2464
	ds_load_b128 v[8:11], v255 offset:3696
	s_waitcnt vmcnt(0) lgkmcnt(1)
	v_mul_f64 v[18:19], v[6:7], v[2:3]
	v_mul_f64 v[2:3], v[4:5], v[2:3]
	s_delay_alu instid0(VALU_DEP_2) | instskip(NEXT) | instid1(VALU_DEP_2)
	v_fma_f64 v[4:5], v[4:5], v[0:1], v[18:19]
	v_fma_f64 v[2:3], v[0:1], v[6:7], -v[2:3]
	s_delay_alu instid0(VALU_DEP_2) | instskip(NEXT) | instid1(VALU_DEP_2)
	v_mul_f64 v[0:1], v[4:5], s[0:1]
	v_mul_f64 v[2:3], v[2:3], s[0:1]
	v_add_co_u32 v4, vcc_lo, v16, s4
	v_add_co_ci_u32_e32 v5, vcc_lo, s3, v17, vcc_lo
	s_delay_alu instid0(VALU_DEP_2) | instskip(NEXT) | instid1(VALU_DEP_2)
	v_add_co_u32 v16, vcc_lo, v4, s4
	v_add_co_ci_u32_e32 v17, vcc_lo, s3, v5, vcc_lo
	v_add_co_u32 v18, vcc_lo, 0x1000, v22
	v_add_co_ci_u32_e32 v19, vcc_lo, 0, v23, vcc_lo
	global_store_b128 v[4:5], v[0:3], off
	global_load_b128 v[0:3], v255, s[12:13] offset:3696
	s_waitcnt vmcnt(0) lgkmcnt(0)
	v_mul_f64 v[6:7], v[10:11], v[2:3]
	v_mul_f64 v[2:3], v[8:9], v[2:3]
	s_delay_alu instid0(VALU_DEP_2) | instskip(NEXT) | instid1(VALU_DEP_2)
	v_fma_f64 v[6:7], v[8:9], v[0:1], v[6:7]
	v_fma_f64 v[2:3], v[0:1], v[10:11], -v[2:3]
	s_delay_alu instid0(VALU_DEP_2) | instskip(NEXT) | instid1(VALU_DEP_2)
	v_mul_f64 v[0:1], v[6:7], s[0:1]
	v_mul_f64 v[2:3], v[2:3], s[0:1]
	global_store_b128 v[16:17], v[0:3], off
	global_load_b128 v[0:3], v[18:19], off offset:832
	ds_load_b128 v[4:7], v255 offset:4928
	ds_load_b128 v[8:11], v255 offset:6160
	s_waitcnt vmcnt(0) lgkmcnt(1)
	v_mul_f64 v[20:21], v[6:7], v[2:3]
	v_mul_f64 v[2:3], v[4:5], v[2:3]
	s_delay_alu instid0(VALU_DEP_2) | instskip(NEXT) | instid1(VALU_DEP_2)
	v_fma_f64 v[4:5], v[4:5], v[0:1], v[20:21]
	v_fma_f64 v[2:3], v[0:1], v[6:7], -v[2:3]
	s_delay_alu instid0(VALU_DEP_2) | instskip(NEXT) | instid1(VALU_DEP_2)
	v_mul_f64 v[0:1], v[4:5], s[0:1]
	v_mul_f64 v[2:3], v[2:3], s[0:1]
	v_add_co_u32 v4, vcc_lo, v16, s4
	v_add_co_ci_u32_e32 v5, vcc_lo, s3, v17, vcc_lo
	s_delay_alu instid0(VALU_DEP_2) | instskip(NEXT) | instid1(VALU_DEP_2)
	v_add_co_u32 v16, vcc_lo, v4, s4
	v_add_co_ci_u32_e32 v17, vcc_lo, s3, v5, vcc_lo
	global_store_b128 v[4:5], v[0:3], off
	global_load_b128 v[0:3], v[18:19], off offset:2064
	s_waitcnt vmcnt(0) lgkmcnt(0)
	v_mul_f64 v[6:7], v[10:11], v[2:3]
	v_mul_f64 v[2:3], v[8:9], v[2:3]
	s_delay_alu instid0(VALU_DEP_2) | instskip(NEXT) | instid1(VALU_DEP_2)
	v_fma_f64 v[6:7], v[8:9], v[0:1], v[6:7]
	v_fma_f64 v[2:3], v[0:1], v[10:11], -v[2:3]
	s_delay_alu instid0(VALU_DEP_2) | instskip(NEXT) | instid1(VALU_DEP_2)
	v_mul_f64 v[0:1], v[6:7], s[0:1]
	v_mul_f64 v[2:3], v[2:3], s[0:1]
	global_store_b128 v[16:17], v[0:3], off
	global_load_b128 v[0:3], v[18:19], off offset:3296
	ds_load_b128 v[4:7], v255 offset:7392
	ds_load_b128 v[8:11], v255 offset:8624
	s_waitcnt vmcnt(0) lgkmcnt(1)
	v_mul_f64 v[18:19], v[6:7], v[2:3]
	v_mul_f64 v[2:3], v[4:5], v[2:3]
	s_delay_alu instid0(VALU_DEP_2) | instskip(NEXT) | instid1(VALU_DEP_2)
	v_fma_f64 v[4:5], v[4:5], v[0:1], v[18:19]
	v_fma_f64 v[2:3], v[0:1], v[6:7], -v[2:3]
	s_delay_alu instid0(VALU_DEP_2) | instskip(NEXT) | instid1(VALU_DEP_2)
	v_mul_f64 v[0:1], v[4:5], s[0:1]
	v_mul_f64 v[2:3], v[2:3], s[0:1]
	v_add_co_u32 v4, vcc_lo, v16, s4
	v_add_co_ci_u32_e32 v5, vcc_lo, s3, v17, vcc_lo
	v_add_co_u32 v16, vcc_lo, 0x2000, v22
	v_add_co_ci_u32_e32 v17, vcc_lo, 0, v23, vcc_lo
	s_delay_alu instid0(VALU_DEP_4) | instskip(NEXT) | instid1(VALU_DEP_4)
	v_add_co_u32 v18, vcc_lo, v4, s4
	v_add_co_ci_u32_e32 v19, vcc_lo, s3, v5, vcc_lo
	global_store_b128 v[4:5], v[0:3], off
	global_load_b128 v[0:3], v[16:17], off offset:432
	s_waitcnt vmcnt(0) lgkmcnt(0)
	v_mul_f64 v[6:7], v[10:11], v[2:3]
	v_mul_f64 v[2:3], v[8:9], v[2:3]
	s_delay_alu instid0(VALU_DEP_2) | instskip(NEXT) | instid1(VALU_DEP_2)
	v_fma_f64 v[6:7], v[8:9], v[0:1], v[6:7]
	v_fma_f64 v[2:3], v[0:1], v[10:11], -v[2:3]
	s_delay_alu instid0(VALU_DEP_2) | instskip(NEXT) | instid1(VALU_DEP_2)
	v_mul_f64 v[0:1], v[6:7], s[0:1]
	v_mul_f64 v[2:3], v[2:3], s[0:1]
	global_store_b128 v[18:19], v[0:3], off
	global_load_b128 v[0:3], v[16:17], off offset:1664
	ds_load_b128 v[4:7], v255 offset:9856
	ds_load_b128 v[8:11], v255 offset:11088
	s_waitcnt vmcnt(0) lgkmcnt(1)
	v_mul_f64 v[20:21], v[6:7], v[2:3]
	v_mul_f64 v[2:3], v[4:5], v[2:3]
	s_delay_alu instid0(VALU_DEP_2) | instskip(NEXT) | instid1(VALU_DEP_2)
	v_fma_f64 v[4:5], v[4:5], v[0:1], v[20:21]
	v_fma_f64 v[2:3], v[0:1], v[6:7], -v[2:3]
	s_delay_alu instid0(VALU_DEP_2) | instskip(NEXT) | instid1(VALU_DEP_2)
	v_mul_f64 v[0:1], v[4:5], s[0:1]
	v_mul_f64 v[2:3], v[2:3], s[0:1]
	v_add_co_u32 v4, vcc_lo, v18, s4
	v_add_co_ci_u32_e32 v5, vcc_lo, s3, v19, vcc_lo
	global_store_b128 v[4:5], v[0:3], off
	global_load_b128 v[0:3], v[16:17], off offset:2896
	v_add_co_u32 v16, vcc_lo, v4, s4
	v_add_co_ci_u32_e32 v17, vcc_lo, s3, v5, vcc_lo
	v_add_co_u32 v18, vcc_lo, 0x3000, v22
	v_add_co_ci_u32_e32 v19, vcc_lo, 0, v23, vcc_lo
	s_waitcnt vmcnt(0) lgkmcnt(0)
	v_mul_f64 v[6:7], v[10:11], v[2:3]
	v_mul_f64 v[2:3], v[8:9], v[2:3]
	s_delay_alu instid0(VALU_DEP_2) | instskip(NEXT) | instid1(VALU_DEP_2)
	v_fma_f64 v[6:7], v[8:9], v[0:1], v[6:7]
	v_fma_f64 v[2:3], v[0:1], v[10:11], -v[2:3]
	s_delay_alu instid0(VALU_DEP_2) | instskip(NEXT) | instid1(VALU_DEP_2)
	v_mul_f64 v[0:1], v[6:7], s[0:1]
	v_mul_f64 v[2:3], v[2:3], s[0:1]
	global_store_b128 v[16:17], v[0:3], off
	global_load_b128 v[0:3], v[18:19], off offset:32
	ds_load_b128 v[4:7], v255 offset:12320
	ds_load_b128 v[8:11], v255 offset:13552
	s_waitcnt vmcnt(0) lgkmcnt(1)
	v_mul_f64 v[20:21], v[6:7], v[2:3]
	v_mul_f64 v[2:3], v[4:5], v[2:3]
	s_delay_alu instid0(VALU_DEP_2) | instskip(NEXT) | instid1(VALU_DEP_2)
	v_fma_f64 v[4:5], v[4:5], v[0:1], v[20:21]
	v_fma_f64 v[2:3], v[0:1], v[6:7], -v[2:3]
	s_delay_alu instid0(VALU_DEP_2) | instskip(NEXT) | instid1(VALU_DEP_2)
	v_mul_f64 v[0:1], v[4:5], s[0:1]
	v_mul_f64 v[2:3], v[2:3], s[0:1]
	v_add_co_u32 v4, vcc_lo, v16, s4
	v_add_co_ci_u32_e32 v5, vcc_lo, s3, v17, vcc_lo
	s_delay_alu instid0(VALU_DEP_2) | instskip(NEXT) | instid1(VALU_DEP_2)
	v_add_co_u32 v16, vcc_lo, v4, s4
	v_add_co_ci_u32_e32 v17, vcc_lo, s3, v5, vcc_lo
	global_store_b128 v[4:5], v[0:3], off
	global_load_b128 v[0:3], v[18:19], off offset:1264
	s_waitcnt vmcnt(0) lgkmcnt(0)
	v_mul_f64 v[6:7], v[10:11], v[2:3]
	v_mul_f64 v[2:3], v[8:9], v[2:3]
	s_delay_alu instid0(VALU_DEP_2) | instskip(NEXT) | instid1(VALU_DEP_2)
	v_fma_f64 v[6:7], v[8:9], v[0:1], v[6:7]
	v_fma_f64 v[2:3], v[0:1], v[10:11], -v[2:3]
	s_delay_alu instid0(VALU_DEP_2) | instskip(NEXT) | instid1(VALU_DEP_2)
	v_mul_f64 v[0:1], v[6:7], s[0:1]
	v_mul_f64 v[2:3], v[2:3], s[0:1]
	global_store_b128 v[16:17], v[0:3], off
	global_load_b128 v[0:3], v[18:19], off offset:2496
	ds_load_b128 v[4:7], v255 offset:14784
	ds_load_b128 v[8:11], v255 offset:16016
	s_waitcnt vmcnt(0) lgkmcnt(1)
	v_mul_f64 v[20:21], v[6:7], v[2:3]
	v_mul_f64 v[2:3], v[4:5], v[2:3]
	s_delay_alu instid0(VALU_DEP_2) | instskip(NEXT) | instid1(VALU_DEP_2)
	v_fma_f64 v[4:5], v[4:5], v[0:1], v[20:21]
	v_fma_f64 v[2:3], v[0:1], v[6:7], -v[2:3]
	s_delay_alu instid0(VALU_DEP_2) | instskip(NEXT) | instid1(VALU_DEP_2)
	v_mul_f64 v[0:1], v[4:5], s[0:1]
	v_mul_f64 v[2:3], v[2:3], s[0:1]
	v_add_co_u32 v4, vcc_lo, v16, s4
	v_add_co_ci_u32_e32 v5, vcc_lo, s3, v17, vcc_lo
	s_delay_alu instid0(VALU_DEP_2) | instskip(NEXT) | instid1(VALU_DEP_2)
	v_add_co_u32 v16, vcc_lo, v4, s4
	v_add_co_ci_u32_e32 v17, vcc_lo, s3, v5, vcc_lo
	global_store_b128 v[4:5], v[0:3], off
	global_load_b128 v[0:3], v[18:19], off offset:3728
	v_add_co_u32 v18, vcc_lo, 0x4000, v22
	v_add_co_ci_u32_e32 v19, vcc_lo, 0, v23, vcc_lo
	s_waitcnt vmcnt(0) lgkmcnt(0)
	v_mul_f64 v[6:7], v[10:11], v[2:3]
	v_mul_f64 v[2:3], v[8:9], v[2:3]
	s_delay_alu instid0(VALU_DEP_2) | instskip(NEXT) | instid1(VALU_DEP_2)
	v_fma_f64 v[6:7], v[8:9], v[0:1], v[6:7]
	v_fma_f64 v[2:3], v[0:1], v[10:11], -v[2:3]
	s_delay_alu instid0(VALU_DEP_2) | instskip(NEXT) | instid1(VALU_DEP_2)
	v_mul_f64 v[0:1], v[6:7], s[0:1]
	v_mul_f64 v[2:3], v[2:3], s[0:1]
	global_store_b128 v[16:17], v[0:3], off
	global_load_b128 v[0:3], v[18:19], off offset:864
	ds_load_b128 v[4:7], v255 offset:17248
	ds_load_b128 v[8:11], v255 offset:18480
	s_waitcnt vmcnt(0) lgkmcnt(1)
	v_mul_f64 v[20:21], v[6:7], v[2:3]
	v_mul_f64 v[2:3], v[4:5], v[2:3]
	s_delay_alu instid0(VALU_DEP_2) | instskip(NEXT) | instid1(VALU_DEP_2)
	v_fma_f64 v[4:5], v[4:5], v[0:1], v[20:21]
	v_fma_f64 v[2:3], v[0:1], v[6:7], -v[2:3]
	s_delay_alu instid0(VALU_DEP_2) | instskip(NEXT) | instid1(VALU_DEP_2)
	v_mul_f64 v[0:1], v[4:5], s[0:1]
	v_mul_f64 v[2:3], v[2:3], s[0:1]
	v_add_co_u32 v4, vcc_lo, v16, s4
	v_add_co_ci_u32_e32 v5, vcc_lo, s3, v17, vcc_lo
	global_store_b128 v[4:5], v[0:3], off
	global_load_b128 v[0:3], v[18:19], off offset:2096
	v_add_co_u32 v4, vcc_lo, v4, s4
	v_add_co_ci_u32_e32 v5, vcc_lo, s3, v5, vcc_lo
	s_waitcnt vmcnt(0) lgkmcnt(0)
	v_mul_f64 v[6:7], v[10:11], v[2:3]
	v_mul_f64 v[2:3], v[8:9], v[2:3]
	s_delay_alu instid0(VALU_DEP_2) | instskip(NEXT) | instid1(VALU_DEP_2)
	v_fma_f64 v[6:7], v[8:9], v[0:1], v[6:7]
	v_fma_f64 v[2:3], v[0:1], v[10:11], -v[2:3]
	s_delay_alu instid0(VALU_DEP_2) | instskip(NEXT) | instid1(VALU_DEP_2)
	v_mul_f64 v[0:1], v[6:7], s[0:1]
	v_mul_f64 v[2:3], v[2:3], s[0:1]
	global_store_b128 v[4:5], v[0:3], off
	global_load_b128 v[0:3], v[18:19], off offset:3328
	v_add_co_u32 v4, vcc_lo, v4, s4
	v_add_co_ci_u32_e32 v5, vcc_lo, s3, v5, vcc_lo
	s_waitcnt vmcnt(0)
	v_mul_f64 v[6:7], v[14:15], v[2:3]
	v_mul_f64 v[2:3], v[12:13], v[2:3]
	s_delay_alu instid0(VALU_DEP_2) | instskip(NEXT) | instid1(VALU_DEP_2)
	v_fma_f64 v[6:7], v[12:13], v[0:1], v[6:7]
	v_fma_f64 v[2:3], v[0:1], v[14:15], -v[2:3]
	s_delay_alu instid0(VALU_DEP_2) | instskip(NEXT) | instid1(VALU_DEP_2)
	v_mul_f64 v[0:1], v[6:7], s[0:1]
	v_mul_f64 v[2:3], v[2:3], s[0:1]
	global_store_b128 v[4:5], v[0:3], off
.LBB0_23:
	s_endpgm
	.section	.rodata,"a",@progbits
	.p2align	6, 0x0
	.amdhsa_kernel bluestein_single_back_len1309_dim1_dp_op_CI_CI
		.amdhsa_group_segment_fixed_size 20944
		.amdhsa_private_segment_fixed_size 588
		.amdhsa_kernarg_size 104
		.amdhsa_user_sgpr_count 15
		.amdhsa_user_sgpr_dispatch_ptr 0
		.amdhsa_user_sgpr_queue_ptr 0
		.amdhsa_user_sgpr_kernarg_segment_ptr 1
		.amdhsa_user_sgpr_dispatch_id 0
		.amdhsa_user_sgpr_private_segment_size 0
		.amdhsa_wavefront_size32 1
		.amdhsa_uses_dynamic_stack 0
		.amdhsa_enable_private_segment 1
		.amdhsa_system_sgpr_workgroup_id_x 1
		.amdhsa_system_sgpr_workgroup_id_y 0
		.amdhsa_system_sgpr_workgroup_id_z 0
		.amdhsa_system_sgpr_workgroup_info 0
		.amdhsa_system_vgpr_workitem_id 0
		.amdhsa_next_free_vgpr 256
		.amdhsa_next_free_sgpr 60
		.amdhsa_reserve_vcc 1
		.amdhsa_float_round_mode_32 0
		.amdhsa_float_round_mode_16_64 0
		.amdhsa_float_denorm_mode_32 3
		.amdhsa_float_denorm_mode_16_64 3
		.amdhsa_dx10_clamp 1
		.amdhsa_ieee_mode 1
		.amdhsa_fp16_overflow 0
		.amdhsa_workgroup_processor_mode 1
		.amdhsa_memory_ordered 1
		.amdhsa_forward_progress 0
		.amdhsa_shared_vgpr_count 0
		.amdhsa_exception_fp_ieee_invalid_op 0
		.amdhsa_exception_fp_denorm_src 0
		.amdhsa_exception_fp_ieee_div_zero 0
		.amdhsa_exception_fp_ieee_overflow 0
		.amdhsa_exception_fp_ieee_underflow 0
		.amdhsa_exception_fp_ieee_inexact 0
		.amdhsa_exception_int_div_zero 0
	.end_amdhsa_kernel
	.text
.Lfunc_end0:
	.size	bluestein_single_back_len1309_dim1_dp_op_CI_CI, .Lfunc_end0-bluestein_single_back_len1309_dim1_dp_op_CI_CI
                                        ; -- End function
	.section	.AMDGPU.csdata,"",@progbits
; Kernel info:
; codeLenInByte = 33484
; NumSgprs: 62
; NumVgprs: 256
; ScratchSize: 588
; MemoryBound: 0
; FloatMode: 240
; IeeeMode: 1
; LDSByteSize: 20944 bytes/workgroup (compile time only)
; SGPRBlocks: 7
; VGPRBlocks: 31
; NumSGPRsForWavesPerEU: 62
; NumVGPRsForWavesPerEU: 256
; Occupancy: 5
; WaveLimiterHint : 1
; COMPUTE_PGM_RSRC2:SCRATCH_EN: 1
; COMPUTE_PGM_RSRC2:USER_SGPR: 15
; COMPUTE_PGM_RSRC2:TRAP_HANDLER: 0
; COMPUTE_PGM_RSRC2:TGID_X_EN: 1
; COMPUTE_PGM_RSRC2:TGID_Y_EN: 0
; COMPUTE_PGM_RSRC2:TGID_Z_EN: 0
; COMPUTE_PGM_RSRC2:TIDIG_COMP_CNT: 0
	.text
	.p2alignl 7, 3214868480
	.fill 96, 4, 3214868480
	.type	__hip_cuid_9d2ab68a9212c0f3,@object ; @__hip_cuid_9d2ab68a9212c0f3
	.section	.bss,"aw",@nobits
	.globl	__hip_cuid_9d2ab68a9212c0f3
__hip_cuid_9d2ab68a9212c0f3:
	.byte	0                               ; 0x0
	.size	__hip_cuid_9d2ab68a9212c0f3, 1

	.ident	"AMD clang version 19.0.0git (https://github.com/RadeonOpenCompute/llvm-project roc-6.4.0 25133 c7fe45cf4b819c5991fe208aaa96edf142730f1d)"
	.section	".note.GNU-stack","",@progbits
	.addrsig
	.addrsig_sym __hip_cuid_9d2ab68a9212c0f3
	.amdgpu_metadata
---
amdhsa.kernels:
  - .args:
      - .actual_access:  read_only
        .address_space:  global
        .offset:         0
        .size:           8
        .value_kind:     global_buffer
      - .actual_access:  read_only
        .address_space:  global
        .offset:         8
        .size:           8
        .value_kind:     global_buffer
      - .actual_access:  read_only
        .address_space:  global
        .offset:         16
        .size:           8
        .value_kind:     global_buffer
      - .actual_access:  read_only
        .address_space:  global
        .offset:         24
        .size:           8
        .value_kind:     global_buffer
      - .actual_access:  read_only
        .address_space:  global
        .offset:         32
        .size:           8
        .value_kind:     global_buffer
      - .offset:         40
        .size:           8
        .value_kind:     by_value
      - .address_space:  global
        .offset:         48
        .size:           8
        .value_kind:     global_buffer
      - .address_space:  global
        .offset:         56
        .size:           8
        .value_kind:     global_buffer
      - .address_space:  global
        .offset:         64
        .size:           8
        .value_kind:     global_buffer
      - .address_space:  global
        .offset:         72
        .size:           8
        .value_kind:     global_buffer
      - .offset:         80
        .size:           4
        .value_kind:     by_value
      - .address_space:  global
        .offset:         88
        .size:           8
        .value_kind:     global_buffer
      - .address_space:  global
        .offset:         96
        .size:           8
        .value_kind:     global_buffer
    .group_segment_fixed_size: 20944
    .kernarg_segment_align: 8
    .kernarg_segment_size: 104
    .language:       OpenCL C
    .language_version:
      - 2
      - 0
    .max_flat_workgroup_size: 119
    .name:           bluestein_single_back_len1309_dim1_dp_op_CI_CI
    .private_segment_fixed_size: 588
    .sgpr_count:     62
    .sgpr_spill_count: 0
    .symbol:         bluestein_single_back_len1309_dim1_dp_op_CI_CI.kd
    .uniform_work_group_size: 1
    .uses_dynamic_stack: false
    .vgpr_count:     256
    .vgpr_spill_count: 244
    .wavefront_size: 32
    .workgroup_processor_mode: 1
amdhsa.target:   amdgcn-amd-amdhsa--gfx1100
amdhsa.version:
  - 1
  - 2
...

	.end_amdgpu_metadata
